;; amdgpu-corpus repo=ROCm/rocFFT kind=compiled arch=gfx906 opt=O3
	.text
	.amdgcn_target "amdgcn-amd-amdhsa--gfx906"
	.amdhsa_code_object_version 6
	.protected	bluestein_single_fwd_len408_dim1_sp_op_CI_CI ; -- Begin function bluestein_single_fwd_len408_dim1_sp_op_CI_CI
	.globl	bluestein_single_fwd_len408_dim1_sp_op_CI_CI
	.p2align	8
	.type	bluestein_single_fwd_len408_dim1_sp_op_CI_CI,@function
bluestein_single_fwd_len408_dim1_sp_op_CI_CI: ; @bluestein_single_fwd_len408_dim1_sp_op_CI_CI
; %bb.0:
	v_mul_u32_u24_e32 v1, 0xf10, v0
	s_mov_b64 s[22:23], s[2:3]
	s_load_dwordx4 s[12:15], s[4:5], 0x28
	v_lshrrev_b32_e32 v1, 16, v1
	s_mov_b64 s[20:21], s[0:1]
	v_mad_u64_u32 v[140:141], s[0:1], s6, 3, v[1:2]
	v_mov_b32_e32 v141, 0
	s_add_u32 s20, s20, s7
	s_waitcnt lgkmcnt(0)
	v_cmp_gt_u64_e32 vcc, s[12:13], v[140:141]
	s_addc_u32 s21, s21, 0
	s_and_saveexec_b64 s[0:1], vcc
	s_cbranch_execz .LBB0_15
; %bb.1:
	s_load_dwordx4 s[8:11], s[4:5], 0x18
	s_load_dwordx2 s[12:13], s[4:5], 0x0
	s_load_dwordx2 s[6:7], s[4:5], 0x38
	v_mul_lo_u16_e32 v1, 17, v1
	v_sub_u16_e32 v147, v0, v1
	s_waitcnt lgkmcnt(0)
	s_load_dwordx4 s[0:3], s[8:9], 0x0
	s_mov_b32 s16, 0xaaaaaaab
	v_mul_hi_u32 v6, v140, s16
	v_or_b32_e32 v18, 0x60, v147
	v_or_b32_e32 v20, 0xc0, v147
	s_waitcnt lgkmcnt(0)
	v_mad_u64_u32 v[0:1], s[8:9], s2, v140, 0
	v_mad_u64_u32 v[2:3], s[8:9], s0, v147, 0
	s_load_dwordx4 s[8:11], s[10:11], 0x0
	s_mul_i32 s17, s0, 0x180
	v_mad_u64_u32 v[4:5], s[2:3], s3, v140, v[1:2]
	v_lshrrev_b32_e32 v5, 1, v6
	v_lshlrev_b32_e32 v81, 3, v147
	v_mov_b32_e32 v1, v4
	v_mad_u64_u32 v[3:4], s[2:3], s1, v147, v[3:4]
	v_lshl_add_u32 v4, v5, 1, v5
	v_lshlrev_b64 v[0:1], 3, v[0:1]
	v_sub_u32_e32 v4, v140, v4
	v_mul_u32_u24_e32 v182, 0x198, v4
	v_mov_b32_e32 v4, s15
	v_add_co_u32_e32 v36, vcc, s14, v0
	v_addc_co_u32_e32 v37, vcc, v4, v1, vcc
	v_lshlrev_b64 v[0:1], 3, v[2:3]
	s_mul_i32 s2, s1, 24
	s_mul_hi_u32 s3, s0, 24
	v_add_co_u32_e32 v0, vcc, v36, v0
	s_add_i32 s3, s3, s2
	s_mul_i32 s2, s0, 24
	v_addc_co_u32_e32 v1, vcc, v37, v1, vcc
	s_lshl_b64 s[2:3], s[2:3], 3
	v_mov_b32_e32 v34, s3
	v_add_co_u32_e32 v2, vcc, s2, v0
	v_addc_co_u32_e32 v3, vcc, v1, v34, vcc
	v_add_co_u32_e32 v4, vcc, s2, v2
	v_addc_co_u32_e32 v5, vcc, v3, v34, vcc
	v_add_co_u32_e32 v6, vcc, s2, v4
	v_addc_co_u32_e32 v7, vcc, v5, v34, vcc
	global_load_dwordx2 v[10:11], v[0:1], off
	global_load_dwordx2 v[12:13], v[2:3], off
	;; [unrolled: 1-line block ×4, first 2 shown]
	v_mad_u64_u32 v[8:9], s[14:15], s0, v18, 0
	buffer_store_dword v18, off, s[20:23], 0 offset:76 ; 4-byte Folded Spill
	global_load_dwordx2 v[49:50], v81, s[12:13]
	global_load_dwordx2 v[47:48], v81, s[12:13] offset:192
	global_load_dwordx2 v[43:44], v81, s[12:13] offset:384
	;; [unrolled: 1-line block ×3, first 2 shown]
	v_mov_b32_e32 v0, v9
	v_mad_u64_u32 v[0:1], s[14:15], s1, v18, v[0:1]
	s_mul_i32 s14, s1, 0x180
	s_mul_hi_u32 s15, s0, 0x180
	v_mov_b32_e32 v9, v0
	v_lshlrev_b64 v[0:1], 3, v[8:9]
	s_add_i32 s16, s15, s14
	v_mad_u64_u32 v[8:9], s[14:15], s0, v20, 0
	v_add_co_u32_e32 v0, vcc, v36, v0
	v_addc_co_u32_e32 v1, vcc, v37, v1, vcc
	v_mov_b32_e32 v3, s16
	v_add_co_u32_e32 v2, vcc, s17, v6
	v_addc_co_u32_e32 v3, vcc, v7, v3, vcc
	global_load_dwordx2 v[4:5], v[0:1], off
	global_load_dwordx2 v[6:7], v[2:3], off
	v_add_co_u32_e32 v0, vcc, s2, v2
	buffer_store_dword v20, off, s[20:23], 0 offset:72 ; 4-byte Folded Spill
	v_addc_co_u32_e32 v1, vcc, v3, v34, vcc
	global_load_dwordx2 v[2:3], v[0:1], off
	v_add_co_u32_e32 v0, vcc, s2, v0
	v_addc_co_u32_e32 v1, vcc, v1, v34, vcc
	global_load_dwordx2 v[18:19], v[0:1], off
	global_load_dwordx2 v[45:46], v81, s[12:13] offset:768
	global_load_dwordx2 v[41:42], v81, s[12:13] offset:960
	;; [unrolled: 1-line block ×4, first 2 shown]
	v_or_b32_e32 v28, 0x120, v147
	v_mad_u64_u32 v[24:25], s[14:15], s0, v28, 0
	buffer_store_dword v28, off, s[20:23], 0 offset:68 ; 4-byte Folded Spill
	v_or_b32_e32 v35, 0x180, v147
	v_mad_u64_u32 v[32:33], s[14:15], s0, v35, 0
	v_mov_b32_e32 v38, s13
	s_waitcnt vmcnt(18)
	v_mad_u64_u32 v[20:21], s[14:15], s1, v20, v[9:10]
	v_mov_b32_e32 v9, v20
	v_lshlrev_b64 v[8:9], 3, v[8:9]
	v_mov_b32_e32 v20, s16
	v_add_co_u32_e32 v8, vcc, v36, v8
	v_addc_co_u32_e32 v9, vcc, v37, v9, vcc
	v_add_co_u32_e32 v0, vcc, s17, v0
	v_addc_co_u32_e32 v1, vcc, v1, v20, vcc
	global_load_dwordx2 v[20:21], v[0:1], off
	v_add_co_u32_e32 v0, vcc, s2, v0
	v_addc_co_u32_e32 v1, vcc, v1, v34, vcc
	global_load_dwordx2 v[22:23], v[0:1], off
	;; [unrolled: 3-line block ×3, first 2 shown]
	s_waitcnt vmcnt(0)
	v_mad_u64_u32 v[28:29], s[14:15], s1, v28, v[25:26]
	global_load_dwordx2 v[8:9], v[8:9], off
	s_nop 0
	global_load_dwordx2 v[254:255], v81, s[12:13] offset:1536
	global_load_dwordx2 v[143:144], v81, s[12:13] offset:1728
	;; [unrolled: 1-line block ×4, first 2 shown]
	v_mov_b32_e32 v25, v28
	v_lshlrev_b64 v[24:25], 3, v[24:25]
	v_add_co_u32_e32 v24, vcc, v36, v24
	v_addc_co_u32_e32 v25, vcc, v37, v25, vcc
	global_load_dwordx2 v[28:29], v[24:25], off
	global_load_dwordx2 v[63:64], v81, s[12:13] offset:2304
	v_mov_b32_e32 v24, s16
	v_add_co_u32_e32 v0, vcc, s17, v0
	v_addc_co_u32_e32 v1, vcc, v1, v24, vcc
	global_load_dwordx2 v[24:25], v[0:1], off
	v_add_co_u32_e32 v0, vcc, s2, v0
	v_addc_co_u32_e32 v1, vcc, v1, v34, vcc
	global_load_dwordx2 v[30:31], v[0:1], off
	v_add_co_u32_e32 v0, vcc, s2, v0
	v_addc_co_u32_e32 v1, vcc, v1, v34, vcc
	v_mad_u64_u32 v[33:34], s[14:15], s1, v35, v[33:34]
	buffer_store_dword v35, off, s[20:23], 0 offset:64 ; 4-byte Folded Spill
	global_load_dwordx2 v[57:58], v81, s[12:13] offset:2496
	v_lshlrev_b64 v[32:33], 3, v[32:33]
	global_load_dwordx2 v[34:35], v[0:1], off
	global_load_dwordx2 v[53:54], v81, s[12:13] offset:2688
	global_load_dwordx2 v[51:52], v81, s[12:13] offset:2880
	v_add_co_u32_e32 v32, vcc, v36, v32
	v_addc_co_u32_e32 v33, vcc, v37, v33, vcc
	global_load_dwordx2 v[36:37], v[32:33], off
	global_load_dwordx2 v[121:122], v81, s[12:13] offset:3072
	v_mul_f32_e32 v32, v11, v50
	v_lshlrev_b32_e32 v33, 3, v182
	v_fmac_f32_e32 v32, v10, v49
	buffer_store_dword v33, off, s[20:23], 0 ; 4-byte Folded Spill
	v_mul_f32_e32 v10, v10, v50
	buffer_store_dword v49, off, s[20:23], 0 offset:44 ; 4-byte Folded Spill
	s_nop 0
	buffer_store_dword v50, off, s[20:23], 0 offset:48 ; 4-byte Folded Spill
	v_add_u32_e32 v177, v81, v33
	v_add_co_u32_e32 v112, vcc, s12, v81
	v_addc_co_u32_e32 v113, vcc, 0, v38, vcc
	v_cmp_gt_u16_e32 vcc, 7, v147
	v_fma_f32 v33, v11, v49, -v10
	v_mul_f32_e32 v10, v13, v48
	v_fmac_f32_e32 v10, v12, v47
	v_mul_f32_e32 v11, v12, v48
	buffer_store_dword v47, off, s[20:23], 0 offset:36 ; 4-byte Folded Spill
	s_nop 0
	buffer_store_dword v48, off, s[20:23], 0 offset:40 ; 4-byte Folded Spill
	v_mul_f32_e32 v12, v17, v40
	v_fmac_f32_e32 v12, v16, v39
	v_fma_f32 v11, v13, v47, -v11
	ds_write2_b64 v177, v[32:33], v[10:11] offset1:24
	v_mul_f32_e32 v10, v15, v44
	v_fmac_f32_e32 v10, v14, v43
	v_mul_f32_e32 v11, v14, v44
	buffer_store_dword v43, off, s[20:23], 0 offset:20 ; 4-byte Folded Spill
	s_nop 0
	buffer_store_dword v44, off, s[20:23], 0 offset:24 ; 4-byte Folded Spill
	v_mul_f32_e32 v13, v16, v40
	buffer_store_dword v39, off, s[20:23], 0 offset:4 ; 4-byte Folded Spill
	s_nop 0
	buffer_store_dword v40, off, s[20:23], 0 offset:8 ; 4-byte Folded Spill
	v_fma_f32 v11, v15, v43, -v11
	v_fma_f32 v13, v17, v39, -v13
	ds_write2_b64 v177, v[10:11], v[12:13] offset0:48 offset1:72
	v_mul_f32_e32 v10, v5, v46
	v_fmac_f32_e32 v10, v4, v45
	v_mul_f32_e32 v4, v4, v46
	buffer_store_dword v45, off, s[20:23], 0 offset:28 ; 4-byte Folded Spill
	s_nop 0
	buffer_store_dword v46, off, s[20:23], 0 offset:32 ; 4-byte Folded Spill
	v_fma_f32 v11, v5, v45, -v4
	v_mul_f32_e32 v4, v7, v42
	v_fmac_f32_e32 v4, v6, v41
	v_mul_f32_e32 v5, v6, v42
	buffer_store_dword v41, off, s[20:23], 0 offset:12 ; 4-byte Folded Spill
	s_nop 0
	buffer_store_dword v42, off, s[20:23], 0 offset:16 ; 4-byte Folded Spill
	v_fma_f32 v5, v7, v41, -v5
	ds_write2_b64 v177, v[10:11], v[4:5] offset0:96 offset1:120
	v_mul_f32_e32 v4, v3, v66
	v_fmac_f32_e32 v4, v2, v65
	v_mul_f32_e32 v2, v2, v66
	buffer_store_dword v65, off, s[20:23], 0 offset:128 ; 4-byte Folded Spill
	s_nop 0
	buffer_store_dword v66, off, s[20:23], 0 offset:132 ; 4-byte Folded Spill
	v_fma_f32 v5, v3, v65, -v2
	v_mul_f32_e32 v2, v19, v62
	v_fmac_f32_e32 v2, v18, v61
	v_mul_f32_e32 v3, v18, v62
	buffer_store_dword v61, off, s[20:23], 0 offset:112 ; 4-byte Folded Spill
	s_nop 0
	buffer_store_dword v62, off, s[20:23], 0 offset:116 ; 4-byte Folded Spill
	v_fma_f32 v3, v19, v61, -v3
	ds_write2_b64 v177, v[4:5], v[2:3] offset0:144 offset1:168
	s_waitcnt vmcnt(31)
	v_mul_f32_e32 v2, v9, v255
	v_mul_f32_e32 v3, v8, v255
	s_waitcnt vmcnt(30)
	v_mul_f32_e32 v4, v21, v144
	v_mul_f32_e32 v5, v20, v144
	v_fmac_f32_e32 v2, v8, v254
	v_fma_f32 v3, v9, v254, -v3
	v_fmac_f32_e32 v4, v20, v143
	v_fma_f32 v5, v21, v143, -v5
	ds_write2_b64 v177, v[2:3], v[4:5] offset0:192 offset1:216
	s_waitcnt vmcnt(29)
	v_mul_f32_e32 v2, v23, v60
	s_waitcnt vmcnt(28)
	v_mul_f32_e32 v5, v27, v56
	v_fmac_f32_e32 v2, v22, v59
	v_mul_f32_e32 v3, v22, v60
	buffer_store_dword v59, off, s[20:23], 0 offset:104 ; 4-byte Folded Spill
	s_nop 0
	buffer_store_dword v60, off, s[20:23], 0 offset:108 ; 4-byte Folded Spill
	v_fmac_f32_e32 v5, v26, v55
	v_mul_f32_e32 v4, v26, v56
	buffer_store_dword v55, off, s[20:23], 0 offset:88 ; 4-byte Folded Spill
	s_nop 0
	buffer_store_dword v56, off, s[20:23], 0 offset:92 ; 4-byte Folded Spill
	v_fma_f32 v3, v23, v59, -v3
	v_fma_f32 v6, v27, v55, -v4
	v_add_u32_e32 v4, 0x400, v177
	ds_write2_b64 v4, v[2:3], v[5:6] offset0:112 offset1:136
	s_waitcnt vmcnt(30)
	v_mul_f32_e32 v2, v29, v64
	s_waitcnt vmcnt(26)
	v_mul_f32_e32 v6, v25, v58
	v_fmac_f32_e32 v2, v28, v63
	v_mul_f32_e32 v3, v28, v64
	buffer_store_dword v63, off, s[20:23], 0 offset:120 ; 4-byte Folded Spill
	s_nop 0
	buffer_store_dword v64, off, s[20:23], 0 offset:124 ; 4-byte Folded Spill
	v_fmac_f32_e32 v6, v24, v57
	v_mul_f32_e32 v5, v24, v58
	buffer_store_dword v57, off, s[20:23], 0 offset:96 ; 4-byte Folded Spill
	s_nop 0
	buffer_store_dword v58, off, s[20:23], 0 offset:100 ; 4-byte Folded Spill
	v_fma_f32 v3, v29, v63, -v3
	v_fma_f32 v7, v25, v57, -v5
	v_add_u32_e32 v5, 0x800, v177
	ds_write2_b64 v5, v[2:3], v[6:7] offset0:32 offset1:56
	s_waitcnt vmcnt(28)
	v_mul_f32_e32 v2, v31, v54
	s_waitcnt vmcnt(27)
	v_mul_f32_e32 v6, v35, v52
	v_fmac_f32_e32 v2, v30, v53
	v_mul_f32_e32 v3, v30, v54
	buffer_store_dword v53, off, s[20:23], 0 offset:80 ; 4-byte Folded Spill
	s_nop 0
	buffer_store_dword v54, off, s[20:23], 0 offset:84 ; 4-byte Folded Spill
	v_fmac_f32_e32 v6, v34, v51
	v_mul_f32_e32 v7, v34, v52
	buffer_store_dword v51, off, s[20:23], 0 offset:52 ; 4-byte Folded Spill
	s_nop 0
	buffer_store_dword v52, off, s[20:23], 0 offset:56 ; 4-byte Folded Spill
	v_fma_f32 v3, v31, v53, -v3
	v_fma_f32 v7, v35, v51, -v7
	ds_write2_b64 v5, v[2:3], v[6:7] offset0:80 offset1:104
	s_waitcnt vmcnt(29)
	v_mul_f32_e32 v2, v37, v122
	v_mul_f32_e32 v3, v36, v122
	v_fmac_f32_e32 v2, v36, v121
	v_fma_f32 v3, v37, v121, -v3
	ds_write_b64 v177, v[2:3] offset:3072
	s_and_saveexec_b64 s[14:15], vcc
	s_cbranch_execz .LBB0_3
; %bb.2:
	v_mov_b32_e32 v2, 0xfffff548
	v_mad_u64_u32 v[0:1], s[16:17], s0, v2, v[0:1]
	s_mulk_i32 s1, 0xf548
	s_sub_i32 s0, s1, s0
	v_add_u32_e32 v1, s0, v1
	global_load_dwordx2 v[2:3], v[0:1], off
	v_mov_b32_e32 v68, s3
	v_add_co_u32_e64 v0, s[0:1], s2, v0
	v_addc_co_u32_e64 v1, s[0:1], v1, v68, s[0:1]
	global_load_dwordx2 v[6:7], v[0:1], off
	v_add_co_u32_e64 v0, s[0:1], s2, v0
	v_addc_co_u32_e64 v1, s[0:1], v1, v68, s[0:1]
	global_load_dwordx2 v[8:9], v[0:1], off
	;; [unrolled: 3-line block ×3, first 2 shown]
	global_load_dwordx2 v[12:13], v[112:113], off offset:136
	global_load_dwordx2 v[14:15], v[112:113], off offset:328
	;; [unrolled: 1-line block ×4, first 2 shown]
	v_add_co_u32_e64 v0, s[0:1], s2, v0
	v_addc_co_u32_e64 v1, s[0:1], v1, v68, s[0:1]
	global_load_dwordx2 v[20:21], v[0:1], off
	v_add_co_u32_e64 v0, s[0:1], s2, v0
	v_addc_co_u32_e64 v1, s[0:1], v1, v68, s[0:1]
	global_load_dwordx2 v[22:23], v[0:1], off
	;; [unrolled: 3-line block ×4, first 2 shown]
	global_load_dwordx2 v[28:29], v[112:113], off offset:904
	global_load_dwordx2 v[30:31], v[112:113], off offset:1096
	global_load_dwordx2 v[32:33], v[112:113], off offset:1288
	global_load_dwordx2 v[34:35], v[112:113], off offset:1480
	v_add_co_u32_e64 v0, s[0:1], s2, v0
	v_addc_co_u32_e64 v1, s[0:1], v1, v68, s[0:1]
	global_load_dwordx2 v[36:37], v[0:1], off
	global_load_dwordx2 v[38:39], v[112:113], off offset:1672
	v_add_co_u32_e64 v0, s[0:1], s2, v0
	v_addc_co_u32_e64 v1, s[0:1], v1, v68, s[0:1]
	global_load_dwordx2 v[40:41], v[0:1], off
	v_add_co_u32_e64 v0, s[0:1], s2, v0
	v_addc_co_u32_e64 v1, s[0:1], v1, v68, s[0:1]
	global_load_dwordx2 v[42:43], v[0:1], off
	;; [unrolled: 3-line block ×3, first 2 shown]
	global_load_dwordx2 v[46:47], v[112:113], off offset:1864
	global_load_dwordx2 v[48:49], v[112:113], off offset:2056
	;; [unrolled: 1-line block ×3, first 2 shown]
	v_add_co_u32_e64 v0, s[0:1], s2, v0
	v_addc_co_u32_e64 v1, s[0:1], v1, v68, s[0:1]
	global_load_dwordx2 v[52:53], v[0:1], off
	global_load_dwordx2 v[54:55], v[112:113], off offset:2440
	v_add_co_u32_e64 v0, s[0:1], s2, v0
	v_addc_co_u32_e64 v1, s[0:1], v1, v68, s[0:1]
	global_load_dwordx2 v[56:57], v[0:1], off
	v_add_co_u32_e64 v0, s[0:1], s2, v0
	v_addc_co_u32_e64 v1, s[0:1], v1, v68, s[0:1]
	global_load_dwordx2 v[58:59], v[112:113], off offset:2632
	global_load_dwordx2 v[60:61], v[0:1], off
	global_load_dwordx2 v[62:63], v[112:113], off offset:2824
	v_add_co_u32_e64 v0, s[0:1], s2, v0
	v_addc_co_u32_e64 v1, s[0:1], v1, v68, s[0:1]
	global_load_dwordx2 v[64:65], v[0:1], off
	global_load_dwordx2 v[66:67], v[112:113], off offset:3016
	v_add_co_u32_e64 v0, s[0:1], s2, v0
	v_addc_co_u32_e64 v1, s[0:1], v1, v68, s[0:1]
	global_load_dwordx2 v[68:69], v[0:1], off
	global_load_dwordx2 v[70:71], v[112:113], off offset:3208
	s_waitcnt vmcnt(29)
	v_mul_f32_e32 v0, v3, v13
	v_mul_f32_e32 v1, v2, v13
	v_fmac_f32_e32 v0, v2, v12
	v_fma_f32 v1, v3, v12, -v1
	s_waitcnt vmcnt(28)
	v_mul_f32_e32 v2, v7, v15
	v_mul_f32_e32 v3, v6, v15
	v_fmac_f32_e32 v2, v6, v14
	v_fma_f32 v3, v7, v14, -v3
	ds_write2_b64 v177, v[0:1], v[2:3] offset0:17 offset1:41
	s_waitcnt vmcnt(27)
	v_mul_f32_e32 v0, v9, v17
	v_mul_f32_e32 v1, v8, v17
	s_waitcnt vmcnt(26)
	v_mul_f32_e32 v2, v11, v19
	v_mul_f32_e32 v3, v10, v19
	v_fmac_f32_e32 v0, v8, v16
	v_fma_f32 v1, v9, v16, -v1
	v_fmac_f32_e32 v2, v10, v18
	v_fma_f32 v3, v11, v18, -v3
	ds_write2_b64 v177, v[0:1], v[2:3] offset0:65 offset1:89
	s_waitcnt vmcnt(21)
	v_mul_f32_e32 v0, v21, v29
	v_mul_f32_e32 v1, v20, v29
	s_waitcnt vmcnt(20)
	v_mul_f32_e32 v2, v23, v31
	v_mul_f32_e32 v3, v22, v31
	v_fmac_f32_e32 v0, v20, v28
	v_fma_f32 v1, v21, v28, -v1
	;; [unrolled: 11-line block ×3, first 2 shown]
	v_fmac_f32_e32 v2, v26, v34
	v_fma_f32 v3, v27, v34, -v3
	ds_write2_b64 v177, v[0:1], v[2:3] offset0:161 offset1:185
	s_waitcnt vmcnt(16)
	v_mul_f32_e32 v0, v37, v39
	v_mul_f32_e32 v1, v36, v39
	v_fmac_f32_e32 v0, v36, v38
	s_waitcnt vmcnt(12)
	v_mul_f32_e32 v2, v41, v47
	v_mul_f32_e32 v3, v40, v47
	v_fma_f32 v1, v37, v38, -v1
	v_fmac_f32_e32 v2, v40, v46
	v_fma_f32 v3, v41, v46, -v3
	ds_write2_b64 v177, v[0:1], v[2:3] offset0:209 offset1:233
	s_waitcnt vmcnt(11)
	v_mul_f32_e32 v0, v43, v49
	v_mul_f32_e32 v1, v42, v49
	s_waitcnt vmcnt(10)
	v_mul_f32_e32 v2, v45, v51
	v_mul_f32_e32 v3, v44, v51
	v_fmac_f32_e32 v0, v42, v48
	v_fma_f32 v1, v43, v48, -v1
	v_fmac_f32_e32 v2, v44, v50
	v_fma_f32 v3, v45, v50, -v3
	ds_write2_b64 v5, v[0:1], v[2:3] offset0:1 offset1:25
	s_waitcnt vmcnt(8)
	v_mul_f32_e32 v0, v53, v55
	v_mul_f32_e32 v1, v52, v55
	s_waitcnt vmcnt(6)
	v_mul_f32_e32 v2, v57, v59
	v_mul_f32_e32 v3, v56, v59
	v_fmac_f32_e32 v0, v52, v54
	;; [unrolled: 11-line block ×3, first 2 shown]
	v_fma_f32 v1, v61, v62, -v1
	v_fmac_f32_e32 v2, v64, v66
	v_fma_f32 v3, v65, v66, -v3
	ds_write2_b64 v5, v[0:1], v[2:3] offset0:97 offset1:121
	s_waitcnt vmcnt(0)
	v_mul_f32_e32 v0, v69, v71
	v_mul_f32_e32 v1, v68, v71
	v_fmac_f32_e32 v0, v68, v70
	v_fma_f32 v1, v69, v70, -v1
	ds_write_b64 v177, v[0:1] offset:3208
.LBB0_3:
	s_or_b64 exec, exec, s[14:15]
	s_waitcnt lgkmcnt(0)
	; wave barrier
	s_waitcnt lgkmcnt(0)
	ds_read2_b64 v[60:63], v177 offset1:24
	ds_read2_b64 v[52:55], v177 offset0:48 offset1:72
	ds_read2_b64 v[44:47], v177 offset0:96 offset1:120
	;; [unrolled: 1-line block ×7, first 2 shown]
	ds_read_b64 v[68:69], v177 offset:3072
	s_load_dwordx2 s[2:3], s[4:5], 0x8
	v_mov_b32_e32 v4, 0
	v_mov_b32_e32 v5, 0
                                        ; implicit-def: $vgpr10
                                        ; implicit-def: $vgpr12
                                        ; implicit-def: $vgpr28
                                        ; implicit-def: $vgpr32
                                        ; implicit-def: $vgpr64
                                        ; implicit-def: $vgpr26
                                        ; implicit-def: $vgpr22
                                        ; implicit-def: $vgpr18
	s_and_saveexec_b64 s[0:1], vcc
	s_cbranch_execz .LBB0_5
; %bb.4:
	ds_read2_b64 v[4:7], v177 offset0:17 offset1:41
	ds_read2_b64 v[16:19], v177 offset0:65 offset1:89
	ds_read2_b64 v[20:23], v177 offset0:113 offset1:137
	ds_read2_b64 v[24:27], v177 offset0:161 offset1:185
	ds_read2_b64 v[8:11], v177 offset0:209 offset1:233
	v_add_u32_e32 v32, 0x800, v177
	ds_read2_b64 v[12:15], v32 offset0:1 offset1:25
	ds_read2_b64 v[28:31], v32 offset0:49 offset1:73
	;; [unrolled: 1-line block ×3, first 2 shown]
	ds_read_b64 v[64:65], v177 offset:3208
.LBB0_5:
	s_or_b64 exec, exec, s[0:1]
	s_waitcnt lgkmcnt(0)
	v_add_f32_e32 v66, v60, v62
	v_add_f32_e32 v67, v61, v63
	v_add_f32_e32 v66, v66, v52
	v_add_f32_e32 v67, v67, v53
	v_add_f32_e32 v66, v66, v54
	v_add_f32_e32 v67, v67, v55
	v_add_f32_e32 v66, v66, v44
	v_add_f32_e32 v67, v67, v45
	v_add_f32_e32 v66, v66, v46
	v_add_f32_e32 v67, v67, v47
	v_add_f32_e32 v66, v66, v36
	v_add_f32_e32 v67, v67, v37
	v_add_f32_e32 v66, v66, v38
	v_add_f32_e32 v67, v67, v39
	v_add_f32_e32 v66, v66, v0
	v_add_f32_e32 v67, v67, v1
	v_add_f32_e32 v66, v66, v2
	v_add_f32_e32 v67, v67, v3
	v_add_f32_e32 v66, v66, v40
	v_add_f32_e32 v67, v67, v41
	v_add_f32_e32 v66, v66, v42
	v_add_f32_e32 v67, v67, v43
	v_add_f32_e32 v66, v66, v48
	v_add_f32_e32 v67, v67, v49
	v_add_f32_e32 v66, v66, v50
	v_add_f32_e32 v67, v67, v51
	v_add_f32_e32 v66, v66, v56
	v_add_f32_e32 v67, v67, v57
	v_add_f32_e32 v66, v66, v58
	v_add_f32_e32 v70, v68, v62
	v_add_f32_e32 v71, v69, v63
	v_sub_f32_e32 v62, v62, v68
	v_sub_f32_e32 v63, v63, v69
	v_add_f32_e32 v67, v67, v59
	v_add_f32_e32 v66, v66, v68
	v_mul_f32_e32 v68, 0xbeb8f4ab, v63
	s_mov_b32 s0, 0x3f6eb680
	v_mul_f32_e32 v72, 0xbeb8f4ab, v62
	v_mul_f32_e32 v74, 0xbf2c7751, v63
	s_mov_b32 s1, 0x3f3d2fb0
	v_mul_f32_e32 v76, 0xbf2c7751, v62
	;; [unrolled: 3-line block ×8, first 2 shown]
	v_add_f32_e32 v67, v67, v69
	v_fma_f32 v69, v70, s0, -v68
	v_mov_b32_e32 v73, v72
	v_fmac_f32_e32 v68, 0x3f6eb680, v70
	v_fma_f32 v75, v70, s1, -v74
	v_mov_b32_e32 v77, v76
	v_fmac_f32_e32 v74, 0x3f3d2fb0, v70
	;; [unrolled: 3-line block ×8, first 2 shown]
	v_add_f32_e32 v69, v60, v69
	v_fmac_f32_e32 v73, 0x3f6eb680, v71
	v_add_f32_e32 v68, v60, v68
	v_fma_f32 v72, v71, s0, -v72
	v_add_f32_e32 v75, v60, v75
	v_fmac_f32_e32 v77, 0x3f3d2fb0, v71
	v_add_f32_e32 v74, v60, v74
	v_fma_f32 v76, v71, s1, -v76
	;; [unrolled: 4-line block ×8, first 2 shown]
	v_add_f32_e32 v63, v59, v53
	v_sub_f32_e32 v53, v53, v59
	v_add_f32_e32 v73, v61, v73
	v_add_f32_e32 v72, v61, v72
	;; [unrolled: 1-line block ×17, first 2 shown]
	v_sub_f32_e32 v52, v52, v58
	v_mul_f32_e32 v58, 0xbf2c7751, v53
	v_fma_f32 v59, v62, s1, -v58
	v_add_f32_e32 v59, v59, v69
	v_mul_f32_e32 v69, 0xbf2c7751, v52
	v_fmac_f32_e32 v58, 0x3f3d2fb0, v62
	v_mov_b32_e32 v70, v69
	v_add_f32_e32 v58, v58, v68
	v_fma_f32 v68, v63, s1, -v69
	v_mul_f32_e32 v69, 0xbf7ee86f, v53
	v_fmac_f32_e32 v70, 0x3f3d2fb0, v63
	v_add_f32_e32 v68, v68, v72
	v_fma_f32 v71, v62, s5, -v69
	v_mul_f32_e32 v72, 0xbf7ee86f, v52
	v_fmac_f32_e32 v69, 0x3dbcf732, v62
	v_add_f32_e32 v70, v70, v73
	v_mov_b32_e32 v73, v72
	v_add_f32_e32 v69, v69, v74
	v_fma_f32 v72, v63, s5, -v72
	v_mul_f32_e32 v74, 0xbf4c4adb, v53
	v_add_f32_e32 v71, v71, v75
	v_fmac_f32_e32 v73, 0x3dbcf732, v63
	v_add_f32_e32 v72, v72, v76
	v_fma_f32 v75, v62, s15, -v74
	v_mul_f32_e32 v76, 0xbf4c4adb, v52
	v_fmac_f32_e32 v74, 0xbf1a4643, v62
	v_add_f32_e32 v73, v73, v77
	v_mov_b32_e32 v77, v76
	v_add_f32_e32 v74, v74, v78
	v_fma_f32 v76, v63, s15, -v76
	v_mul_f32_e32 v78, 0xbe3c28d5, v53
	v_add_f32_e32 v75, v75, v79
	;; [unrolled: 11-line block ×5, first 2 shown]
	v_add_f32_e32 v90, v90, v94
	v_fma_f32 v93, v62, s4, -v92
	v_mul_f32_e32 v94, 0x3f65296c, v52
	v_mul_f32_e32 v52, 0x3eb8f4ab, v52
	v_add_f32_e32 v93, v93, v97
	v_fmac_f32_e32 v92, 0x3ee437d1, v62
	v_mul_f32_e32 v53, 0x3eb8f4ab, v53
	v_mov_b32_e32 v97, v52
	v_fma_f32 v52, v63, s0, -v52
	v_add_f32_e32 v92, v92, v96
	v_fma_f32 v96, v62, s0, -v53
	v_fmac_f32_e32 v53, 0x3f6eb680, v62
	v_add_f32_e32 v52, v52, v61
	v_add_f32_e32 v61, v57, v55
	v_sub_f32_e32 v55, v55, v57
	v_add_f32_e32 v53, v53, v60
	v_add_f32_e32 v60, v56, v54
	v_sub_f32_e32 v54, v54, v56
	v_mul_f32_e32 v56, 0xbf65296c, v55
	v_fma_f32 v57, v60, s4, -v56
	v_fmac_f32_e32 v91, 0xbe8c1d8e, v63
	v_add_f32_e32 v57, v57, v59
	v_mul_f32_e32 v59, 0xbf65296c, v54
	v_fmac_f32_e32 v56, 0x3ee437d1, v60
	v_add_f32_e32 v91, v91, v95
	v_mov_b32_e32 v95, v94
	v_mov_b32_e32 v62, v59
	v_add_f32_e32 v56, v56, v58
	v_fma_f32 v58, v61, s4, -v59
	v_mul_f32_e32 v59, 0xbf4c4adb, v55
	v_fmac_f32_e32 v95, 0x3ee437d1, v63
	v_fma_f32 v94, v63, s4, -v94
	v_fmac_f32_e32 v97, 0x3f6eb680, v63
	v_fma_f32 v63, v60, s15, -v59
	v_fmac_f32_e32 v59, 0xbf1a4643, v60
	v_fmac_f32_e32 v62, 0x3ee437d1, v61
	v_add_f32_e32 v58, v58, v68
	v_mul_f32_e32 v68, 0xbf4c4adb, v54
	v_add_f32_e32 v59, v59, v69
	v_mul_f32_e32 v69, 0x3e3c28d5, v55
	v_add_f32_e32 v62, v62, v70
	v_add_f32_e32 v63, v63, v71
	v_mov_b32_e32 v70, v68
	v_fma_f32 v68, v61, s15, -v68
	v_fma_f32 v71, v60, s17, -v69
	v_fmac_f32_e32 v69, 0xbf7ba420, v60
	v_fmac_f32_e32 v70, 0xbf1a4643, v61
	v_add_f32_e32 v68, v68, v72
	v_mul_f32_e32 v72, 0x3e3c28d5, v54
	v_add_f32_e32 v69, v69, v74
	v_mul_f32_e32 v74, 0x3f763a35, v55
	v_add_f32_e32 v70, v70, v73
	v_add_f32_e32 v71, v71, v75
	v_mov_b32_e32 v73, v72
	v_fma_f32 v72, v61, s17, -v72
	;; [unrolled: 11-line block ×5, first 2 shown]
	v_fma_f32 v89, v60, s5, -v88
	v_fmac_f32_e32 v88, 0x3dbcf732, v60
	v_mul_f32_e32 v55, 0xbf06c442, v55
	v_add_f32_e32 v86, v86, v90
	v_mul_f32_e32 v90, 0xbf7ee86f, v54
	v_add_f32_e32 v88, v88, v92
	v_fma_f32 v92, v60, s16, -v55
	v_mul_f32_e32 v54, 0xbf06c442, v54
	v_fmac_f32_e32 v55, 0xbf59a7d5, v60
	v_add_f32_e32 v89, v89, v93
	v_mov_b32_e32 v93, v54
	v_add_f32_e32 v53, v55, v53
	v_fma_f32 v54, v61, s16, -v54
	v_add_f32_e32 v55, v51, v45
	v_sub_f32_e32 v45, v45, v51
	v_add_f32_e32 v52, v54, v52
	v_add_f32_e32 v54, v50, v44
	v_sub_f32_e32 v44, v44, v50
	v_mul_f32_e32 v50, 0xbf7ee86f, v45
	v_fma_f32 v51, v54, s5, -v50
	v_fmac_f32_e32 v87, 0x3f6eb680, v61
	v_add_f32_e32 v51, v51, v57
	v_mul_f32_e32 v57, 0xbf7ee86f, v44
	v_fmac_f32_e32 v50, 0x3dbcf732, v54
	v_add_f32_e32 v87, v87, v91
	v_mov_b32_e32 v91, v90
	v_mov_b32_e32 v60, v57
	v_add_f32_e32 v50, v50, v56
	v_fma_f32 v56, v55, s5, -v57
	v_mul_f32_e32 v57, 0xbe3c28d5, v45
	v_fmac_f32_e32 v91, 0x3dbcf732, v61
	v_fma_f32 v90, v61, s5, -v90
	v_fmac_f32_e32 v93, 0xbf59a7d5, v61
	v_fmac_f32_e32 v60, 0x3dbcf732, v55
	v_add_f32_e32 v56, v56, v58
	v_fma_f32 v58, v54, s17, -v57
	v_mul_f32_e32 v61, 0xbe3c28d5, v44
	v_fmac_f32_e32 v57, 0xbf7ba420, v54
	v_add_f32_e32 v60, v60, v62
	v_mov_b32_e32 v62, v61
	v_add_f32_e32 v57, v57, v59
	v_fma_f32 v59, v55, s17, -v61
	v_mul_f32_e32 v61, 0x3f763a35, v45
	v_add_f32_e32 v58, v58, v63
	v_fma_f32 v63, v54, s14, -v61
	v_fmac_f32_e32 v61, 0xbe8c1d8e, v54
	v_fmac_f32_e32 v62, 0xbf7ba420, v55
	v_add_f32_e32 v59, v59, v68
	v_mul_f32_e32 v68, 0x3f763a35, v44
	v_add_f32_e32 v61, v61, v69
	v_mul_f32_e32 v69, 0x3eb8f4ab, v45
	v_add_f32_e32 v62, v62, v70
	v_add_f32_e32 v63, v63, v71
	v_mov_b32_e32 v70, v68
	v_fma_f32 v68, v55, s14, -v68
	v_fma_f32 v71, v54, s0, -v69
	v_fmac_f32_e32 v69, 0x3f6eb680, v54
	v_fmac_f32_e32 v70, 0xbe8c1d8e, v55
	v_add_f32_e32 v68, v68, v72
	v_mul_f32_e32 v72, 0x3eb8f4ab, v44
	v_add_f32_e32 v69, v69, v74
	v_mul_f32_e32 v74, 0xbf65296c, v45
	v_add_f32_e32 v70, v70, v73
	v_add_f32_e32 v71, v71, v75
	v_mov_b32_e32 v73, v72
	v_fma_f32 v72, v55, s0, -v72
	;; [unrolled: 11-line block ×4, first 2 shown]
	v_fma_f32 v85, v54, s15, -v84
	v_fmac_f32_e32 v84, 0xbf1a4643, v54
	v_mul_f32_e32 v45, 0x3f2c7751, v45
	v_add_f32_e32 v82, v82, v86
	v_mul_f32_e32 v86, 0x3f4c4adb, v44
	v_add_f32_e32 v84, v84, v88
	v_fma_f32 v88, v54, s1, -v45
	v_mul_f32_e32 v44, 0x3f2c7751, v44
	v_fmac_f32_e32 v45, 0x3f3d2fb0, v54
	v_add_f32_e32 v85, v85, v89
	v_mov_b32_e32 v89, v44
	v_add_f32_e32 v45, v45, v53
	v_fma_f32 v44, v55, s1, -v44
	v_add_f32_e32 v53, v49, v47
	v_sub_f32_e32 v47, v47, v49
	v_add_f32_e32 v44, v44, v52
	v_add_f32_e32 v52, v48, v46
	v_sub_f32_e32 v46, v46, v48
	v_mul_f32_e32 v48, 0xbf763a35, v47
	v_fma_f32 v49, v52, s14, -v48
	v_fmac_f32_e32 v83, 0xbf59a7d5, v55
	v_add_f32_e32 v49, v49, v51
	v_mul_f32_e32 v51, 0xbf763a35, v46
	v_fmac_f32_e32 v48, 0xbe8c1d8e, v52
	v_add_f32_e32 v83, v83, v87
	v_mov_b32_e32 v87, v86
	v_mov_b32_e32 v54, v51
	v_add_f32_e32 v48, v48, v50
	v_fma_f32 v50, v53, s14, -v51
	v_mul_f32_e32 v51, 0x3f06c442, v47
	v_fmac_f32_e32 v87, 0xbf1a4643, v55
	v_fma_f32 v86, v55, s15, -v86
	v_fmac_f32_e32 v89, 0x3f3d2fb0, v55
	v_add_f32_e32 v50, v50, v56
	v_fma_f32 v55, v52, s16, -v51
	v_mul_f32_e32 v56, 0x3f06c442, v46
	v_fmac_f32_e32 v51, 0xbf59a7d5, v52
	v_add_f32_e32 v55, v55, v58
	v_mov_b32_e32 v58, v56
	v_add_f32_e32 v51, v51, v57
	v_fma_f32 v56, v53, s16, -v56
	v_mul_f32_e32 v57, 0x3f2c7751, v47
	v_fmac_f32_e32 v54, 0xbe8c1d8e, v53
	v_add_f32_e32 v56, v56, v59
	v_fma_f32 v59, v52, s1, -v57
	v_fmac_f32_e32 v57, 0x3f3d2fb0, v52
	v_add_f32_e32 v54, v54, v60
	v_fmac_f32_e32 v58, 0xbf59a7d5, v53
	v_mul_f32_e32 v60, 0x3f2c7751, v46
	v_add_f32_e32 v57, v57, v61
	v_mul_f32_e32 v61, 0xbf65296c, v47
	v_add_f32_e32 v58, v58, v62
	v_add_f32_e32 v59, v59, v63
	v_mov_b32_e32 v62, v60
	v_fma_f32 v60, v53, s1, -v60
	v_fma_f32 v63, v52, s4, -v61
	v_fmac_f32_e32 v61, 0x3ee437d1, v52
	v_fmac_f32_e32 v62, 0x3f3d2fb0, v53
	v_add_f32_e32 v60, v60, v68
	v_mul_f32_e32 v68, 0xbf65296c, v46
	v_add_f32_e32 v61, v61, v69
	v_mul_f32_e32 v69, 0xbe3c28d5, v47
	v_add_f32_e32 v62, v62, v70
	v_add_f32_e32 v63, v63, v71
	v_mov_b32_e32 v70, v68
	v_fma_f32 v68, v53, s4, -v68
	v_fma_f32 v71, v52, s17, -v69
	v_fmac_f32_e32 v69, 0xbf7ba420, v52
	v_fmac_f32_e32 v70, 0x3ee437d1, v53
	v_add_f32_e32 v68, v68, v72
	;; [unrolled: 11-line block ×3, first 2 shown]
	v_mul_f32_e32 v76, 0x3f7ee86f, v46
	v_add_f32_e32 v74, v74, v78
	v_mul_f32_e32 v78, 0xbeb8f4ab, v47
	v_add_f32_e32 v73, v73, v77
	v_add_f32_e32 v75, v75, v79
	v_mov_b32_e32 v77, v76
	v_fma_f32 v76, v53, s5, -v76
	v_fma_f32 v79, v52, s0, -v78
	v_fmac_f32_e32 v78, 0x3f6eb680, v52
	v_mul_f32_e32 v47, 0xbf4c4adb, v47
	v_add_f32_e32 v76, v76, v82
	v_mul_f32_e32 v82, 0xbeb8f4ab, v46
	v_add_f32_e32 v78, v78, v84
	v_fma_f32 v84, v52, s15, -v47
	v_mul_f32_e32 v46, 0xbf4c4adb, v46
	v_fmac_f32_e32 v47, 0xbf1a4643, v52
	v_add_f32_e32 v79, v79, v85
	v_mov_b32_e32 v85, v46
	v_add_f32_e32 v45, v47, v45
	v_fma_f32 v46, v53, s15, -v46
	v_add_f32_e32 v47, v43, v37
	v_sub_f32_e32 v37, v37, v43
	v_add_f32_e32 v44, v46, v44
	v_add_f32_e32 v46, v42, v36
	v_sub_f32_e32 v36, v36, v42
	v_mul_f32_e32 v42, 0xbf4c4adb, v37
	v_fma_f32 v43, v46, s15, -v42
	v_fmac_f32_e32 v77, 0x3dbcf732, v53
	v_add_f32_e32 v43, v43, v49
	v_mul_f32_e32 v49, 0xbf4c4adb, v36
	v_fmac_f32_e32 v42, 0xbf1a4643, v46
	v_add_f32_e32 v77, v77, v83
	v_mov_b32_e32 v83, v82
	v_mov_b32_e32 v52, v49
	v_add_f32_e32 v42, v42, v48
	v_fma_f32 v48, v47, s15, -v49
	v_mul_f32_e32 v49, 0x3f763a35, v37
	v_fmac_f32_e32 v83, 0x3f6eb680, v53
	v_fma_f32 v82, v53, s0, -v82
	v_fmac_f32_e32 v85, 0xbf1a4643, v53
	v_fmac_f32_e32 v52, 0xbf1a4643, v47
	v_add_f32_e32 v48, v48, v50
	v_fma_f32 v50, v46, s14, -v49
	v_mul_f32_e32 v53, 0x3f763a35, v36
	v_fmac_f32_e32 v49, 0xbe8c1d8e, v46
	v_add_f32_e32 v52, v52, v54
	v_mov_b32_e32 v54, v53
	v_add_f32_e32 v49, v49, v51
	v_fma_f32 v51, v47, s14, -v53
	v_mul_f32_e32 v53, 0xbeb8f4ab, v37
	v_add_f32_e32 v50, v50, v55
	v_fma_f32 v55, v46, s0, -v53
	v_fmac_f32_e32 v53, 0x3f6eb680, v46
	v_fmac_f32_e32 v54, 0xbe8c1d8e, v47
	v_add_f32_e32 v51, v51, v56
	v_mul_f32_e32 v56, 0xbeb8f4ab, v36
	v_add_f32_e32 v53, v53, v57
	v_mul_f32_e32 v57, 0xbf06c442, v37
	v_add_f32_e32 v54, v54, v58
	v_add_f32_e32 v55, v55, v59
	v_mov_b32_e32 v58, v56
	v_fma_f32 v56, v47, s0, -v56
	v_fma_f32 v59, v46, s16, -v57
	v_fmac_f32_e32 v57, 0xbf59a7d5, v46
	v_fmac_f32_e32 v58, 0x3f6eb680, v47
	v_add_f32_e32 v56, v56, v60
	v_mul_f32_e32 v60, 0xbf06c442, v36
	v_add_f32_e32 v57, v57, v61
	v_mul_f32_e32 v61, 0x3f7ee86f, v37
	v_add_f32_e32 v58, v58, v62
	v_add_f32_e32 v59, v59, v63
	v_mov_b32_e32 v62, v60
	v_fma_f32 v60, v47, s16, -v60
	;; [unrolled: 11-line block ×4, first 2 shown]
	v_fma_f32 v75, v46, s17, -v74
	v_fmac_f32_e32 v74, 0xbf7ba420, v46
	v_mul_f32_e32 v37, 0x3f65296c, v37
	v_add_f32_e32 v72, v72, v76
	v_mul_f32_e32 v76, 0xbe3c28d5, v36
	v_add_f32_e32 v74, v74, v78
	v_fma_f32 v78, v46, s4, -v37
	v_mul_f32_e32 v36, 0x3f65296c, v36
	v_fmac_f32_e32 v37, 0x3ee437d1, v46
	v_add_f32_e32 v75, v75, v79
	v_mov_b32_e32 v79, v36
	v_add_f32_e32 v37, v37, v45
	v_fma_f32 v36, v47, s4, -v36
	v_add_f32_e32 v45, v41, v39
	v_sub_f32_e32 v39, v39, v41
	v_add_f32_e32 v36, v36, v44
	v_add_f32_e32 v44, v40, v38
	v_sub_f32_e32 v38, v38, v40
	v_mul_f32_e32 v40, 0xbf06c442, v39
	v_fma_f32 v41, v44, s16, -v40
	v_fmac_f32_e32 v73, 0x3f3d2fb0, v47
	v_add_f32_e32 v41, v41, v43
	v_mul_f32_e32 v43, 0xbf06c442, v38
	v_fmac_f32_e32 v40, 0xbf59a7d5, v44
	v_add_f32_e32 v73, v73, v77
	v_mov_b32_e32 v77, v76
	v_mov_b32_e32 v46, v43
	v_add_f32_e32 v40, v40, v42
	v_fma_f32 v42, v45, s16, -v43
	v_mul_f32_e32 v43, 0x3f65296c, v39
	v_fmac_f32_e32 v77, 0xbf7ba420, v47
	v_fma_f32 v76, v47, s17, -v76
	v_fmac_f32_e32 v79, 0x3ee437d1, v47
	v_add_f32_e32 v42, v42, v48
	v_fma_f32 v47, v44, s4, -v43
	v_mul_f32_e32 v48, 0x3f65296c, v38
	v_fmac_f32_e32 v43, 0x3ee437d1, v44
	v_fmac_f32_e32 v46, 0xbf59a7d5, v45
	v_add_f32_e32 v47, v47, v50
	v_mov_b32_e32 v50, v48
	v_add_f32_e32 v43, v43, v49
	v_fma_f32 v48, v45, s4, -v48
	v_mul_f32_e32 v49, 0xbf7ee86f, v39
	v_add_f32_e32 v46, v46, v52
	v_add_f32_e32 v48, v48, v51
	v_fma_f32 v51, v44, s5, -v49
	v_mul_f32_e32 v52, 0xbf7ee86f, v38
	v_fmac_f32_e32 v49, 0x3dbcf732, v44
	v_fmac_f32_e32 v50, 0x3ee437d1, v45
	v_add_f32_e32 v51, v51, v55
	v_add_f32_e32 v55, v49, v53
	v_fma_f32 v49, v45, s5, -v52
	v_add_f32_e32 v50, v50, v54
	v_mov_b32_e32 v54, v52
	v_add_f32_e32 v56, v49, v56
	v_mul_f32_e32 v49, 0x3f4c4adb, v39
	v_fmac_f32_e32 v54, 0x3dbcf732, v45
	v_fma_f32 v52, v44, s15, -v49
	v_add_f32_e32 v54, v54, v58
	v_add_f32_e32 v58, v52, v59
	v_mul_f32_e32 v52, 0x3f4c4adb, v38
	v_fmac_f32_e32 v49, 0xbf1a4643, v44
	v_add_f32_e32 v57, v49, v57
	v_fma_f32 v49, v45, s15, -v52
	v_mov_b32_e32 v53, v52
	v_add_f32_e32 v60, v49, v60
	v_mul_f32_e32 v49, 0xbeb8f4ab, v39
	v_fmac_f32_e32 v53, 0xbf1a4643, v45
	v_fma_f32 v52, v44, s0, -v49
	v_add_f32_e32 v59, v53, v62
	v_add_f32_e32 v62, v52, v63
	v_mul_f32_e32 v52, 0xbeb8f4ab, v38
	v_fmac_f32_e32 v49, 0x3f6eb680, v44
	v_add_f32_e32 v61, v49, v61
	v_fma_f32 v49, v45, s0, -v52
	v_mov_b32_e32 v53, v52
	v_add_f32_e32 v68, v49, v68
	v_mul_f32_e32 v49, 0xbe3c28d5, v39
	v_fmac_f32_e32 v53, 0x3f6eb680, v45
	v_fma_f32 v52, v44, s17, -v49
	v_add_f32_e32 v63, v53, v70
	v_add_f32_e32 v70, v52, v71
	v_mul_f32_e32 v52, 0xbe3c28d5, v38
	v_fmac_f32_e32 v49, 0xbf7ba420, v44
	v_add_f32_e32 v94, v94, v98
	v_add_f32_e32 v69, v49, v69
	v_fma_f32 v49, v45, s17, -v52
	v_add_f32_e32 v95, v95, v99
	v_add_f32_e32 v96, v96, v100
	;; [unrolled: 1-line block ×3, first 2 shown]
	v_mov_b32_e32 v53, v52
	v_add_f32_e32 v72, v49, v72
	v_mul_f32_e32 v49, 0x3f2c7751, v39
	v_add_f32_e32 v97, v97, v101
	v_add_f32_e32 v91, v91, v95
	;; [unrolled: 1-line block ×4, first 2 shown]
	v_fmac_f32_e32 v53, 0xbf7ba420, v45
	v_fma_f32 v52, v44, s1, -v49
	v_add_f32_e32 v93, v93, v97
	v_add_f32_e32 v87, v87, v91
	;; [unrolled: 1-line block ×6, first 2 shown]
	v_mul_f32_e32 v52, 0x3f2c7751, v38
	v_fmac_f32_e32 v49, 0x3f3d2fb0, v44
	v_add_f32_e32 v89, v89, v93
	v_add_f32_e32 v83, v83, v87
	;; [unrolled: 1-line block ×4, first 2 shown]
	v_mov_b32_e32 v53, v52
	v_add_f32_e32 v74, v49, v74
	v_fma_f32 v49, v45, s1, -v52
	v_mul_f32_e32 v39, 0xbf763a35, v39
	v_add_f32_e32 v85, v85, v89
	v_add_f32_e32 v77, v77, v83
	;; [unrolled: 1-line block ×3, first 2 shown]
	v_fmac_f32_e32 v53, 0x3f3d2fb0, v45
	v_add_f32_e32 v76, v49, v76
	v_fma_f32 v49, v44, s14, -v39
	v_mul_f32_e32 v38, 0xbf763a35, v38
	v_sub_f32_e32 v86, v1, v3
	v_add_f32_e32 v79, v79, v85
	v_add_f32_e32 v75, v53, v77
	;; [unrolled: 1-line block ×3, first 2 shown]
	v_mov_b32_e32 v49, v38
	v_add_f32_e32 v83, v2, v0
	v_sub_f32_e32 v85, v0, v2
	v_mul_f32_e32 v0, 0xbe3c28d5, v86
	v_fmac_f32_e32 v49, 0xbe8c1d8e, v45
	v_fmac_f32_e32 v39, 0xbe8c1d8e, v44
	v_add_f32_e32 v84, v3, v1
	v_fma_f32 v1, v83, s17, -v0
	v_add_f32_e32 v78, v49, v79
	v_add_f32_e32 v79, v39, v37
	v_fma_f32 v37, v45, s14, -v38
	v_add_f32_e32 v52, v1, v41
	v_mul_f32_e32 v1, 0xbe3c28d5, v85
	v_fmac_f32_e32 v0, 0xbf7ba420, v83
	v_add_f32_e32 v82, v37, v36
	v_add_f32_e32 v36, v0, v40
	v_fma_f32 v0, v84, s17, -v1
	v_add_f32_e32 v37, v0, v42
	v_mul_f32_e32 v0, 0x3eb8f4ab, v86
	v_mov_b32_e32 v2, v1
	v_fma_f32 v1, v83, s0, -v0
	v_fmac_f32_e32 v2, 0xbf7ba420, v84
	v_add_f32_e32 v44, v1, v47
	v_mul_f32_e32 v1, 0x3eb8f4ab, v85
	v_add_f32_e32 v53, v2, v46
	v_mov_b32_e32 v2, v1
	v_fmac_f32_e32 v2, 0x3f6eb680, v84
	v_add_f32_e32 v45, v2, v50
	v_mul_f32_e32 v2, 0xbf06c442, v86
	v_fma_f32 v1, v84, s0, -v1
	v_fma_f32 v3, v83, s16, -v2
	v_add_f32_e32 v1, v1, v48
	v_add_f32_e32 v48, v3, v51
	v_mul_f32_e32 v3, 0xbf06c442, v85
	v_mov_b32_e32 v38, v3
	v_fmac_f32_e32 v38, 0xbf59a7d5, v84
	v_fmac_f32_e32 v2, 0xbf59a7d5, v83
	v_add_f32_e32 v49, v38, v54
	v_add_f32_e32 v38, v2, v55
	v_fma_f32 v2, v84, s16, -v3
	v_add_f32_e32 v39, v2, v56
	v_mul_f32_e32 v2, 0x3f2c7751, v86
	v_fma_f32 v3, v83, s1, -v2
	v_add_f32_e32 v50, v3, v58
	v_mul_f32_e32 v3, 0x3f2c7751, v85
	v_mov_b32_e32 v40, v3
	v_fmac_f32_e32 v40, 0x3f3d2fb0, v84
	v_add_f32_e32 v51, v40, v59
	v_mul_f32_e32 v40, 0xbf4c4adb, v86
	v_fma_f32 v41, v83, s15, -v40
	v_add_f32_e32 v56, v41, v62
	v_mul_f32_e32 v41, 0xbf4c4adb, v85
	v_mov_b32_e32 v42, v41
	v_fmac_f32_e32 v2, 0x3f3d2fb0, v83
	v_fmac_f32_e32 v42, 0xbf1a4643, v84
	;; [unrolled: 1-line block ×3, first 2 shown]
	v_add_f32_e32 v2, v2, v57
	v_add_f32_e32 v57, v42, v63
	v_mul_f32_e32 v42, 0x3f65296c, v86
	v_add_f32_e32 v0, v0, v43
	v_fma_f32 v43, v83, s4, -v42
	v_add_f32_e32 v54, v43, v70
	v_mul_f32_e32 v43, 0x3f65296c, v85
	v_mov_b32_e32 v46, v43
	v_fmac_f32_e32 v46, 0x3ee437d1, v84
	v_fma_f32 v41, v84, s15, -v41
	v_add_f32_e32 v55, v46, v71
	v_mul_f32_e32 v46, 0xbf763a35, v86
	v_sub_f32_e32 v95, v7, v65
	v_add_f32_e32 v41, v41, v68
	v_fma_f32 v47, v83, s14, -v46
	v_mul_f32_e32 v68, 0xbeb8f4ab, v95
	v_fmac_f32_e32 v42, 0x3ee437d1, v83
	v_add_f32_e32 v58, v47, v73
	v_mul_f32_e32 v47, 0xbf763a35, v85
	v_add_f32_e32 v90, v64, v6
	v_sub_f32_e32 v94, v6, v64
	v_mov_b32_e32 v70, v68
	v_fma_f32 v3, v84, s1, -v3
	v_add_f32_e32 v42, v42, v69
	v_mov_b32_e32 v59, v47
	v_fma_f32 v47, v84, s14, -v47
	v_mul_f32_e32 v62, 0x3f7ee86f, v86
	v_add_f32_e32 v91, v65, v7
	v_mul_f32_e32 v69, 0xbeb8f4ab, v94
	v_fmac_f32_e32 v70, 0x3f6eb680, v90
	v_sub_f32_e32 v101, v17, v35
	v_add_f32_e32 v3, v3, v60
	v_add_f32_e32 v47, v47, v76
	v_fma_f32 v60, v83, s5, -v62
	v_add_f32_e32 v76, v70, v4
	v_fma_f32 v70, v91, s0, -v69
	v_mul_f32_e32 v124, 0xbf2c7751, v101
	v_fmac_f32_e32 v40, 0xbf1a4643, v83
	v_fma_f32 v43, v84, s4, -v43
	v_fmac_f32_e32 v46, 0xbe8c1d8e, v83
	v_add_f32_e32 v60, v60, v77
	v_mul_f32_e32 v63, 0x3f7ee86f, v85
	v_fmac_f32_e32 v62, 0x3dbcf732, v83
	v_add_f32_e32 v77, v70, v5
	v_mul_f32_e32 v70, 0xbf2c7751, v95
	v_add_f32_e32 v92, v34, v16
	v_mov_b32_e32 v83, v124
	v_add_f32_e32 v40, v40, v61
	v_add_f32_e32 v43, v43, v72
	v_mov_b32_e32 v61, v63
	v_mov_b32_e32 v72, v70
	v_fmac_f32_e32 v83, 0x3f3d2fb0, v92
	v_mul_f32_e32 v131, 0xbf7ee86f, v101
	v_fmac_f32_e32 v61, 0x3dbcf732, v84
	v_mul_f32_e32 v71, 0xbf2c7751, v94
	v_fmac_f32_e32 v72, 0x3f3d2fb0, v90
	v_sub_f32_e32 v98, v16, v34
	v_add_f32_e32 v85, v83, v76
	v_mov_b32_e32 v83, v131
	v_add_f32_e32 v61, v61, v78
	v_add_f32_e32 v78, v72, v4
	v_fma_f32 v72, v91, s1, -v71
	v_add_f32_e32 v93, v35, v17
	v_mul_f32_e32 v130, 0xbf7ee86f, v98
	v_fmac_f32_e32 v83, 0x3dbcf732, v92
	v_add_f32_e32 v62, v62, v79
	v_add_f32_e32 v79, v72, v5
	v_mul_f32_e32 v139, 0xbf65296c, v95
	v_add_f32_e32 v87, v83, v78
	v_fma_f32 v78, v93, s5, -v130
	v_mov_b32_e32 v72, v139
	v_add_f32_e32 v88, v78, v79
	v_mul_f32_e32 v79, 0xbf4c4adb, v101
	v_fma_f32 v63, v84, s5, -v63
	v_mul_f32_e32 v129, 0xbf65296c, v94
	v_fmac_f32_e32 v72, 0x3ee437d1, v90
	v_mov_b32_e32 v78, v79
	v_add_f32_e32 v63, v63, v82
	v_add_f32_e32 v82, v72, v4
	v_fma_f32 v72, v91, s4, -v129
	v_mul_f32_e32 v83, 0xbf4c4adb, v98
	v_fmac_f32_e32 v78, 0xbf1a4643, v92
	v_sub_f32_e32 v105, v19, v33
	v_fmac_f32_e32 v59, 0xbe8c1d8e, v84
	v_add_f32_e32 v84, v72, v5
	v_add_f32_e32 v111, v78, v82
	v_fma_f32 v78, v93, s15, -v83
	v_mul_f32_e32 v133, 0xbf65296c, v105
	v_mul_f32_e32 v148, 0xbf2c7751, v98
	v_add_f32_e32 v110, v78, v84
	v_add_f32_e32 v96, v32, v18
	v_sub_f32_e32 v104, v18, v32
	v_mov_b32_e32 v84, v133
	v_fma_f32 v76, v93, s1, -v148
	v_add_f32_e32 v97, v33, v19
	v_mul_f32_e32 v82, 0xbf65296c, v104
	v_fmac_f32_e32 v84, 0x3ee437d1, v96
	v_add_f32_e32 v86, v76, v77
	v_add_f32_e32 v89, v84, v85
	v_fma_f32 v84, v97, s4, -v82
	v_mul_f32_e32 v141, 0xbf4c4adb, v105
	v_add_f32_e32 v102, v84, v86
	v_mov_b32_e32 v86, v141
	v_mul_f32_e32 v84, 0xbf4c4adb, v104
	v_fmac_f32_e32 v86, 0xbf1a4643, v96
	v_sub_f32_e32 v107, v21, v31
	v_add_f32_e32 v103, v86, v87
	v_fma_f32 v86, v97, s15, -v84
	v_mul_f32_e32 v127, 0xbf7ee86f, v107
	v_add_f32_e32 v108, v86, v88
	v_add_f32_e32 v99, v30, v20
	v_sub_f32_e32 v106, v20, v30
	v_mov_b32_e32 v88, v127
	v_add_f32_e32 v100, v31, v21
	v_mul_f32_e32 v142, 0xbf7ee86f, v106
	v_fmac_f32_e32 v88, 0x3dbcf732, v99
	v_add_f32_e32 v149, v88, v89
	v_fma_f32 v88, v100, s5, -v142
	v_mul_f32_e32 v145, 0xbe3c28d5, v107
	v_add_f32_e32 v59, v59, v75
	v_add_f32_e32 v150, v88, v102
	v_mov_b32_e32 v102, v145
	v_mul_lo_u16_e32 v153, 17, v147
	v_lshlrev_b32_e32 v75, 3, v182
	v_mul_f32_e32 v128, 0xbe3c28d5, v106
	v_fmac_f32_e32 v102, 0xbf7ba420, v99
	v_sub_f32_e32 v109, v23, v29
	v_lshl_add_u32 v185, v153, 3, v75
	v_add_f32_e32 v151, v102, v103
	v_fma_f32 v102, v100, s17, -v128
	s_waitcnt lgkmcnt(0)
	; wave barrier
	ds_write2_b64 v185, v[66:67], v[52:53] offset1:1
	v_mul_f32_e32 v52, 0xbf763a35, v109
	v_add_f32_e32 v152, v102, v108
	v_add_f32_e32 v102, v28, v22
	v_sub_f32_e32 v108, v22, v28
	v_mov_b32_e32 v66, v52
	v_sub_f32_e32 v162, v25, v15
	v_add_f32_e32 v103, v29, v23
	v_mul_f32_e32 v53, 0xbf763a35, v108
	v_fmac_f32_e32 v66, 0xbe8c1d8e, v102
	ds_write2_b64 v185, v[44:45], v[48:49] offset0:2 offset1:3
	v_mul_f32_e32 v44, 0xbf4c4adb, v162
	v_add_f32_e32 v149, v66, v149
	v_fma_f32 v66, v103, s14, -v53
	v_add_f32_e32 v165, v14, v24
	v_sub_f32_e32 v161, v24, v14
	v_mov_b32_e32 v48, v44
	v_add_f32_e32 v150, v66, v150
	v_mul_f32_e32 v66, 0x3f06c442, v109
	v_add_f32_e32 v166, v15, v25
	v_mul_f32_e32 v45, 0xbf4c4adb, v161
	v_fmac_f32_e32 v48, 0xbf1a4643, v165
	v_mov_b32_e32 v67, v66
	ds_write2_b64 v185, v[50:51], v[56:57] offset0:4 offset1:5
	v_add_f32_e32 v56, v48, v149
	v_fma_f32 v48, v166, s15, -v45
	v_mul_f32_e32 v49, 0x3f763a35, v162
	v_sub_f32_e32 v164, v27, v13
	v_fmac_f32_e32 v67, 0xbf59a7d5, v102
	v_add_f32_e32 v57, v48, v150
	v_mov_b32_e32 v48, v49
	ds_write2_b64 v185, v[40:41], v[2:3] offset0:12 offset1:13
	v_mul_f32_e32 v40, 0x3f65296c, v164
	v_add_f32_e32 v151, v67, v151
	v_mul_f32_e32 v67, 0x3f06c442, v108
	v_fmac_f32_e32 v48, 0xbe8c1d8e, v165
	v_add_f32_e32 v169, v12, v26
	v_sub_f32_e32 v226, v9, v11
	v_mov_b32_e32 v41, v40
	v_add_f32_e32 v46, v46, v74
	v_fma_f32 v153, v103, s16, -v67
	v_add_f32_e32 v149, v48, v151
	v_mul_f32_e32 v51, 0x3f763a35, v161
	v_sub_f32_e32 v163, v26, v12
	v_fmac_f32_e32 v41, 0x3ee437d1, v169
	ds_write2_b64 v185, v[38:39], v[0:1] offset0:14 offset1:15
	v_mul_f32_e32 v38, 0x3eb8f4ab, v226
	v_add_f32_e32 v152, v153, v152
	v_fma_f32 v48, v166, s14, -v51
	v_add_f32_e32 v170, v13, v27
	v_add_f32_e32 v167, v10, v8
	ds_write2_b64 v185, v[46:47], v[42:43] offset0:10 offset1:11
	v_sub_f32_e32 v184, v8, v10
	v_add_f32_e32 v46, v41, v149
	v_mul_f32_e32 v41, 0x3f65296c, v163
	v_mov_b32_e32 v0, v38
	v_add_f32_e32 v150, v48, v152
	v_mul_f32_e32 v48, 0xbf06c442, v164
	v_add_f32_e32 v168, v11, v9
	v_fma_f32 v47, v170, s4, -v41
	v_mul_f32_e32 v39, 0x3eb8f4ab, v184
	v_fmac_f32_e32 v0, 0x3f6eb680, v167
	ds_write2_b64 v185, v[54:55], v[58:59] offset0:6 offset1:7
	v_mov_b32_e32 v54, v48
	v_mul_f32_e32 v42, 0xbe3c28d5, v226
	v_add_f32_e32 v47, v47, v150
	v_add_f32_e32 v0, v0, v46
	v_fma_f32 v1, v168, s0, -v39
	v_mul_f32_e32 v46, 0x3e3c28d5, v105
	v_mul_f32_e32 v50, 0xbf06c442, v163
	v_fmac_f32_e32 v54, 0xbf59a7d5, v169
	v_mov_b32_e32 v2, v42
	v_add_f32_e32 v1, v1, v47
	v_mov_b32_e32 v47, v46
	v_add_f32_e32 v54, v54, v56
	v_fma_f32 v55, v170, s16, -v50
	v_mul_f32_e32 v43, 0xbe3c28d5, v184
	v_fmac_f32_e32 v2, 0xbf7ba420, v167
	v_fmac_f32_e32 v47, 0xbf7ba420, v96
	v_mul_f32_e32 v56, 0x3e3c28d5, v104
	v_add_f32_e32 v55, v55, v57
	v_add_f32_e32 v2, v2, v54
	v_fma_f32 v3, v168, s17, -v43
	v_add_f32_e32 v54, v47, v111
	v_fma_f32 v47, v97, s17, -v56
	v_add_f32_e32 v3, v3, v55
	v_add_f32_e32 v55, v47, v110
	v_mul_f32_e32 v47, 0x3f763a35, v107
	v_mov_b32_e32 v57, v47
	v_fmac_f32_e32 v57, 0xbe8c1d8e, v99
	v_mul_f32_e32 v58, 0x3f763a35, v106
	v_add_f32_e32 v57, v57, v54
	v_fma_f32 v54, v100, s14, -v58
	v_add_f32_e32 v55, v54, v55
	v_mul_f32_e32 v54, 0x3f2c7751, v109
	v_mov_b32_e32 v59, v54
	ds_write2_b64 v185, v[60:61], v[62:63] offset0:8 offset1:9
	v_fmac_f32_e32 v59, 0x3f3d2fb0, v102
	v_mul_f32_e32 v60, 0x3f2c7751, v108
	v_add_f32_e32 v57, v59, v57
	v_fma_f32 v59, v103, s1, -v60
	v_add_f32_e32 v59, v59, v55
	v_mul_f32_e32 v55, 0xbeb8f4ab, v162
	v_mov_b32_e32 v61, v55
	v_fmac_f32_e32 v61, 0x3f6eb680, v165
	v_add_f32_e32 v62, v61, v57
	v_mul_f32_e32 v61, 0xbeb8f4ab, v161
	v_fma_f32 v57, v166, s0, -v61
	v_add_f32_e32 v59, v57, v59
	v_mul_f32_e32 v57, 0xbf7ee86f, v164
	v_mov_b32_e32 v63, v57
	v_fmac_f32_e32 v63, 0x3dbcf732, v169
	v_add_f32_e32 v63, v63, v62
	v_mul_f32_e32 v62, 0xbf7ee86f, v163
	;; [unrolled: 7-line block ×4, first 2 shown]
	v_mov_b32_e32 v152, v111
	v_fmac_f32_e32 v152, 0xbf7ba420, v92
	v_mul_f32_e32 v174, 0xbf7ee86f, v94
	v_add_f32_e32 v151, v152, v151
	v_fma_f32 v152, v91, s5, -v174
	v_mul_f32_e32 v175, 0xbe3c28d5, v98
	v_add_f32_e32 v152, v152, v5
	v_fma_f32 v153, v93, s17, -v175
	v_mul_f32_e32 v171, 0x3f763a35, v105
	v_add_f32_e32 v152, v153, v152
	v_mov_b32_e32 v153, v171
	v_fmac_f32_e32 v153, 0xbe8c1d8e, v96
	v_mul_f32_e32 v186, 0x3f763a35, v104
	v_add_f32_e32 v151, v153, v151
	v_fma_f32 v153, v97, s14, -v186
	v_mul_f32_e32 v172, 0x3eb8f4ab, v107
	v_add_f32_e32 v152, v153, v152
	v_mov_b32_e32 v153, v172
	v_fmac_f32_e32 v153, 0x3f6eb680, v99
	;; [unrolled: 7-line block ×6, first 2 shown]
	v_mul_f32_e32 v193, 0x3f2c7751, v184
	v_add_f32_e32 v135, v153, v151
	v_fma_f32 v153, v168, s1, -v193
	v_mul_f32_e32 v194, 0xbf763a35, v95
	v_add_f32_e32 v136, v153, v152
	v_mov_b32_e32 v153, v194
	v_mul_f32_e32 v195, 0x3f06c442, v101
	v_fmac_f32_e32 v153, 0xbe8c1d8e, v90
	v_mov_b32_e32 v154, v195
	v_add_f32_e32 v153, v153, v4
	v_fmac_f32_e32 v154, 0xbf59a7d5, v92
	v_mul_f32_e32 v199, 0xbf763a35, v94
	v_add_f32_e32 v153, v154, v153
	v_fma_f32 v154, v91, s14, -v199
	v_mul_f32_e32 v200, 0x3f06c442, v98
	v_add_f32_e32 v154, v154, v5
	v_fma_f32 v155, v93, s16, -v200
	v_mul_f32_e32 v196, 0x3f2c7751, v105
	v_add_f32_e32 v154, v155, v154
	v_mov_b32_e32 v155, v196
	v_fmac_f32_e32 v155, 0x3f3d2fb0, v96
	v_mul_f32_e32 v202, 0x3f2c7751, v104
	v_add_f32_e32 v153, v155, v153
	v_fma_f32 v155, v97, s1, -v202
	v_mul_f32_e32 v197, 0xbf65296c, v107
	v_add_f32_e32 v154, v155, v154
	v_mov_b32_e32 v155, v197
	v_fmac_f32_e32 v155, 0x3ee437d1, v99
	;; [unrolled: 7-line block ×6, first 2 shown]
	v_mul_f32_e32 v209, 0xbf4c4adb, v184
	v_add_f32_e32 v151, v155, v153
	v_fma_f32 v155, v168, s15, -v209
	v_mul_f32_e32 v210, 0xbf4c4adb, v95
	v_add_f32_e32 v152, v155, v154
	v_mov_b32_e32 v155, v210
	v_mul_f32_e32 v211, 0x3f763a35, v101
	v_fmac_f32_e32 v155, 0xbf1a4643, v90
	v_mov_b32_e32 v156, v211
	v_add_f32_e32 v155, v155, v4
	v_fmac_f32_e32 v156, 0xbe8c1d8e, v92
	v_mul_f32_e32 v217, 0xbf4c4adb, v94
	v_add_f32_e32 v155, v156, v155
	v_fma_f32 v156, v91, s15, -v217
	v_mul_f32_e32 v218, 0x3f763a35, v98
	v_add_f32_e32 v156, v156, v5
	v_fma_f32 v157, v93, s14, -v218
	v_mul_f32_e32 v212, 0xbeb8f4ab, v105
	v_add_f32_e32 v156, v157, v156
	v_mov_b32_e32 v157, v212
	v_fmac_f32_e32 v157, 0x3f6eb680, v96
	v_mul_f32_e32 v219, 0xbeb8f4ab, v104
	v_add_f32_e32 v155, v157, v155
	v_fma_f32 v157, v97, s0, -v219
	v_mul_f32_e32 v213, 0xbf06c442, v107
	v_add_f32_e32 v156, v157, v156
	v_mov_b32_e32 v157, v213
	v_fmac_f32_e32 v157, 0xbf59a7d5, v99
	;; [unrolled: 7-line block ×6, first 2 shown]
	v_mul_f32_e32 v225, 0x3f65296c, v184
	v_add_f32_e32 v154, v157, v155
	v_fma_f32 v157, v168, s4, -v225
	v_mul_f32_e32 v159, 0xbf06c442, v95
	v_add_f32_e32 v155, v157, v156
	v_fma_f32 v157, v90, s16, -v159
	;; [unrolled: 3-line block ×3, first 2 shown]
	v_mul_f32_e32 v227, 0xbf06c442, v94
	v_add_f32_e32 v157, v158, v157
	v_mov_b32_e32 v158, v227
	v_mul_f32_e32 v228, 0x3f65296c, v98
	v_fmac_f32_e32 v158, 0xbf59a7d5, v91
	v_mov_b32_e32 v229, v228
	v_add_f32_e32 v158, v158, v5
	v_fmac_f32_e32 v229, 0x3ee437d1, v93
	v_add_f32_e32 v158, v229, v158
	v_mul_f32_e32 v229, 0xbf7ee86f, v105
	v_fma_f32 v230, v96, s5, -v229
	v_add_f32_e32 v157, v230, v157
	v_mul_f32_e32 v230, 0xbf7ee86f, v104
	v_mov_b32_e32 v231, v230
	v_fmac_f32_e32 v231, 0x3dbcf732, v97
	v_add_f32_e32 v158, v231, v158
	v_mul_f32_e32 v231, 0x3f4c4adb, v107
	v_fma_f32 v232, v99, s15, -v231
	v_add_f32_e32 v157, v232, v157
	v_mul_f32_e32 v232, 0x3f4c4adb, v106
	v_mov_b32_e32 v233, v232
	;; [unrolled: 7-line block ×4, first 2 shown]
	v_fmac_f32_e32 v237, 0xbf7ba420, v166
	v_fmac_f32_e32 v159, 0xbf59a7d5, v90
	v_add_f32_e32 v158, v237, v158
	v_mul_f32_e32 v237, 0x3f2c7751, v164
	v_add_f32_e32 v159, v159, v4
	v_fmac_f32_e32 v160, 0x3ee437d1, v92
	v_fma_f32 v238, v169, s1, -v237
	v_add_f32_e32 v159, v160, v159
	v_fma_f32 v160, v91, s16, -v227
	v_add_f32_e32 v157, v238, v157
	v_mul_f32_e32 v238, 0x3f2c7751, v163
	v_add_f32_e32 v160, v160, v5
	v_fma_f32 v227, v93, s4, -v228
	v_mov_b32_e32 v239, v238
	v_add_f32_e32 v160, v227, v160
	v_fma_f32 v227, v97, s5, -v230
	v_fmac_f32_e32 v239, 0x3f3d2fb0, v170
	v_add_f32_e32 v160, v227, v160
	v_fma_f32 v227, v100, s15, -v232
	v_add_f32_e32 v158, v239, v158
	v_mul_f32_e32 v239, 0xbf763a35, v226
	v_add_f32_e32 v160, v227, v160
	v_fma_f32 v227, v103, s0, -v234
	v_fma_f32 v240, v167, s14, -v239
	v_add_f32_e32 v160, v227, v160
	v_fma_f32 v227, v166, s17, -v236
	v_add_f32_e32 v157, v240, v157
	v_mul_f32_e32 v240, 0xbf763a35, v184
	v_add_f32_e32 v160, v227, v160
	v_fma_f32 v227, v170, s1, -v238
	v_add_f32_e32 v160, v227, v160
	v_fma_f32 v227, v168, s14, -v240
	v_mul_f32_e32 v95, 0xbe3c28d5, v95
	v_add_f32_e32 v126, v227, v160
	v_fma_f32 v227, v90, s17, -v95
	v_mul_f32_e32 v101, 0x3eb8f4ab, v101
	;; [unrolled: 3-line block ×3, first 2 shown]
	v_fmac_f32_e32 v229, 0x3dbcf732, v96
	v_add_f32_e32 v227, v228, v227
	v_mov_b32_e32 v228, v94
	v_mul_f32_e32 v98, 0x3eb8f4ab, v98
	v_add_f32_e32 v159, v229, v159
	v_fmac_f32_e32 v228, 0xbf7ba420, v91
	v_mov_b32_e32 v229, v98
	v_add_f32_e32 v228, v228, v5
	v_fmac_f32_e32 v229, 0x3f6eb680, v93
	v_mul_f32_e32 v105, 0xbf06c442, v105
	v_add_f32_e32 v228, v229, v228
	v_fma_f32 v229, v96, s16, -v105
	v_mul_f32_e32 v104, 0xbf06c442, v104
	v_add_f32_e32 v227, v229, v227
	v_mov_b32_e32 v229, v104
	v_fmac_f32_e32 v229, 0xbf59a7d5, v97
	v_mul_f32_e32 v107, 0x3f2c7751, v107
	v_add_f32_e32 v228, v229, v228
	v_fma_f32 v229, v99, s1, -v107
	v_mul_f32_e32 v106, 0x3f2c7751, v106
	v_add_f32_e32 v227, v229, v227
	v_mov_b32_e32 v229, v106
	;; [unrolled: 7-line block ×3, first 2 shown]
	v_fmac_f32_e32 v229, 0xbf1a4643, v103
	v_add_f32_e32 v228, v229, v228
	v_mul_f32_e32 v229, 0x3f65296c, v162
	v_fma_f32 v162, v165, s4, -v229
	v_add_f32_e32 v162, v162, v227
	v_mul_f32_e32 v227, 0x3f65296c, v161
	v_fmac_f32_e32 v95, 0xbf7ba420, v90
	v_mov_b32_e32 v161, v227
	v_add_f32_e32 v95, v95, v4
	v_fmac_f32_e32 v101, 0x3f6eb680, v92
	v_fma_f32 v94, v91, s17, -v94
	v_fmac_f32_e32 v161, 0x3ee437d1, v166
	v_mul_f32_e32 v164, 0xbf763a35, v164
	v_add_f32_e32 v95, v101, v95
	v_add_f32_e32 v94, v94, v5
	v_fma_f32 v98, v93, s0, -v98
	v_fmac_f32_e32 v105, 0xbf59a7d5, v96
	v_add_f32_e32 v161, v161, v228
	v_fma_f32 v228, v169, s14, -v164
	v_mul_f32_e32 v163, 0xbf763a35, v163
	v_add_f32_e32 v94, v98, v94
	v_add_f32_e32 v95, v105, v95
	v_fma_f32 v98, v97, s16, -v104
	v_fmac_f32_e32 v107, 0x3f3d2fb0, v99
	v_fmac_f32_e32 v231, 0xbf1a4643, v99
	v_add_f32_e32 v162, v228, v162
	v_mov_b32_e32 v228, v163
	v_add_f32_e32 v94, v98, v94
	v_add_f32_e32 v95, v107, v95
	v_fma_f32 v98, v100, s1, -v106
	v_fmac_f32_e32 v109, 0xbf1a4643, v102
	v_add_f32_e32 v159, v231, v159
	v_fmac_f32_e32 v233, 0x3f6eb680, v102
	v_fmac_f32_e32 v228, 0xbe8c1d8e, v170
	v_mul_f32_e32 v226, 0x3f7ee86f, v226
	v_add_f32_e32 v94, v98, v94
	v_add_f32_e32 v95, v109, v95
	v_fma_f32 v98, v103, s15, -v108
	v_fmac_f32_e32 v229, 0x3ee437d1, v165
	v_add_f32_e32 v159, v233, v159
	v_fmac_f32_e32 v235, 0xbf7ba420, v165
	v_add_f32_e32 v228, v228, v161
	v_fma_f32 v161, v167, s5, -v226
	v_mul_f32_e32 v184, 0x3f7ee86f, v184
	v_add_f32_e32 v94, v98, v94
	v_add_f32_e32 v95, v229, v95
	v_fma_f32 v98, v166, s4, -v227
	v_fmac_f32_e32 v164, 0xbe8c1d8e, v169
	v_mov_b32_e32 v241, v240
	v_add_f32_e32 v159, v235, v159
	v_fmac_f32_e32 v237, 0x3f3d2fb0, v169
	v_add_f32_e32 v161, v161, v162
	v_mov_b32_e32 v162, v184
	v_add_f32_e32 v94, v98, v94
	v_add_f32_e32 v95, v164, v95
	v_fma_f32 v98, v170, s14, -v163
	v_fmac_f32_e32 v226, 0x3dbcf732, v167
	v_fmac_f32_e32 v241, 0xbe8c1d8e, v168
	v_add_f32_e32 v159, v237, v159
	v_fmac_f32_e32 v239, 0xbe8c1d8e, v167
	v_fmac_f32_e32 v162, 0x3dbcf732, v168
	v_add_f32_e32 v94, v98, v94
	v_add_f32_e32 v163, v226, v95
	v_fma_f32 v95, v168, s5, -v184
	ds_write_b64 v185, v[36:37] offset:128
	v_add_co_u32_e64 v36, s[0:1], 17, v147
	v_add_f32_e32 v158, v241, v158
	v_add_f32_e32 v125, v239, v159
	;; [unrolled: 1-line block ×4, first 2 shown]
	v_mul_u32_u24_e32 v36, 17, v36
	buffer_store_dword v36, off, s[20:23], 0 offset:60 ; 4-byte Folded Spill
	s_and_saveexec_b64 s[0:1], vcc
	s_cbranch_execz .LBB0_7
; %bb.6:
	v_mul_f32_e32 v36, 0xbf1a4643, v90
	v_mul_f32_e32 v94, 0x3f6eb680, v90
	;; [unrolled: 1-line block ×12, first 2 shown]
	v_mov_b32_e32 v235, v152
	v_sub_f32_e32 v36, v36, v210
	v_mov_b32_e32 v234, v151
	v_mul_f32_e32 v151, 0x3ee437d1, v96
	v_mul_f32_e32 v156, 0xbf1a4643, v96
	;; [unrolled: 1-line block ×6, first 2 shown]
	v_mov_b32_e32 v237, v155
	v_add_f32_e32 v36, v36, v4
	v_sub_f32_e32 v92, v92, v211
	v_mul_f32_e32 v244, 0x3dbcf732, v99
	v_mul_f32_e32 v246, 0xbf7ba420, v99
	;; [unrolled: 1-line block ×6, first 2 shown]
	v_mov_b32_e32 v236, v154
	v_mov_b32_e32 v155, v136
	v_add_f32_e32 v36, v92, v36
	v_sub_f32_e32 v92, v96, v212
	v_mov_b32_e32 v154, v135
	v_mul_f32_e32 v135, 0xbe8c1d8e, v102
	v_mul_f32_e32 v184, 0xbf59a7d5, v102
	;; [unrolled: 1-line block ×6, first 2 shown]
	v_add_f32_e32 v36, v92, v36
	v_sub_f32_e32 v92, v99, v213
	v_mov_b32_e32 v160, v69
	v_mul_f32_e32 v69, 0xbf1a4643, v165
	v_mul_f32_e32 v123, 0xbe8c1d8e, v165
	;; [unrolled: 1-line block ×6, first 2 shown]
	v_add_f32_e32 v36, v92, v36
	v_sub_f32_e32 v92, v102, v214
	v_mul_f32_e32 v95, 0x3f6eb680, v91
	v_mul_f32_e32 v101, 0x3f3d2fb0, v91
	;; [unrolled: 1-line block ×19, first 2 shown]
	v_add_f32_e32 v36, v92, v36
	v_sub_f32_e32 v92, v165, v215
	v_mul_f32_e32 v137, 0xbf59a7d5, v169
	v_mul_f32_e32 v132, 0xbf59a7d5, v170
	;; [unrolled: 1-line block ×14, first 2 shown]
	v_add_f32_e32 v93, v218, v93
	v_mul_f32_e32 v218, 0x3f3d2fb0, v167
	v_add_f32_e32 v97, v219, v97
	v_mul_f32_e32 v219, 0xbf1a4643, v167
	v_mul_f32_e32 v167, 0x3ee437d1, v167
	v_add_f32_e32 v36, v92, v36
	v_sub_f32_e32 v92, v115, v216
	v_add_f32_e32 v36, v92, v36
	v_sub_f32_e32 v92, v167, v221
	v_add_f32_e32 v36, v92, v36
	v_add_f32_e32 v92, v199, v109
	;; [unrolled: 1-line block ×4, first 2 shown]
	v_mul_f32_e32 v253, 0x3ee437d1, v100
	v_add_f32_e32 v91, v91, v92
	v_add_f32_e32 v92, v202, v243
	v_mov_b32_e32 v153, v68
	v_mul_f32_e32 v68, 0xbf7ba420, v103
	v_add_f32_e32 v37, v217, v37
	v_add_f32_e32 v91, v92, v91
	;; [unrolled: 1-line block ×3, first 2 shown]
	v_mul_f32_e32 v78, 0x3dbcf732, v166
	v_add_f32_e32 v37, v37, v5
	v_add_f32_e32 v91, v92, v91
	;; [unrolled: 1-line block ×7, first 2 shown]
	v_mul_f32_e32 v97, 0xbf1a4643, v168
	v_add_f32_e32 v68, v78, v68
	v_add_f32_e32 v78, v208, v114
	v_add_f32_e32 v68, v78, v68
	v_add_f32_e32 v78, v209, v97
	v_add_f32_e32 v91, v78, v68
	v_sub_f32_e32 v68, v108, v194
	v_add_f32_e32 v68, v68, v4
	v_sub_f32_e32 v78, v90, v195
	v_add_f32_e32 v68, v78, v68
	v_sub_f32_e32 v78, v242, v196
	v_add_f32_e32 v68, v78, v68
	v_sub_f32_e32 v78, v252, v197
	v_add_f32_e32 v68, v78, v68
	v_sub_f32_e32 v78, v183, v198
	v_add_f32_e32 v68, v78, v68
	v_sub_f32_e32 v77, v77, v201
	v_add_f32_e32 v68, v77, v68
	v_sub_f32_e32 v77, v89, v203
	v_add_f32_e32 v68, v77, v68
	v_sub_f32_e32 v77, v219, v205
	v_add_f32_e32 v90, v77, v68
	v_add_f32_e32 v68, v174, v107
	v_add_f32_e32 v68, v68, v5
	v_add_f32_e32 v77, v175, v233
	v_mul_f32_e32 v251, 0x3f6eb680, v100
	v_add_f32_e32 v68, v77, v68
	v_add_f32_e32 v77, v186, v241
	v_mul_f32_e32 v80, 0x3ee437d1, v103
	v_add_f32_e32 v68, v77, v68
	v_add_f32_e32 v77, v188, v251
	v_mul_f32_e32 v76, 0xbf59a7d5, v166
	v_add_f32_e32 v68, v77, v68
	v_add_f32_e32 v77, v190, v80
	v_add_f32_e32 v68, v77, v68
	v_add_f32_e32 v76, v191, v76
	v_mul_f32_e32 v93, 0x3f3d2fb0, v168
	v_add_f32_e32 v68, v76, v68
	v_add_f32_e32 v76, v192, v88
	v_add_f32_e32 v68, v76, v68
	v_add_f32_e32 v76, v193, v93
	v_add_f32_e32 v93, v76, v68
	v_sub_f32_e32 v68, v106, v110
	v_add_f32_e32 v68, v68, v4
	v_sub_f32_e32 v76, v232, v111
	v_add_f32_e32 v68, v76, v68
	v_sub_f32_e32 v76, v240, v171
	v_add_f32_e32 v68, v76, v68
	v_sub_f32_e32 v76, v250, v172
	v_add_f32_e32 v68, v76, v68
	v_sub_f32_e32 v76, v181, v173
	v_add_f32_e32 v68, v76, v68
	v_sub_f32_e32 v75, v75, v176
	v_add_f32_e32 v68, v75, v68
	v_sub_f32_e32 v75, v87, v187
	v_add_f32_e32 v68, v75, v68
	v_sub_f32_e32 v75, v218, v189
	v_add_f32_e32 v92, v75, v68
	v_add_f32_e32 v68, v129, v105
	v_add_f32_e32 v68, v68, v5
	v_add_f32_e32 v75, v83, v231
	v_mul_f32_e32 v249, 0xbe8c1d8e, v100
	v_add_f32_e32 v68, v75, v68
	v_add_f32_e32 v56, v56, v239
	v_mul_f32_e32 v180, 0x3f3d2fb0, v103
	v_add_f32_e32 v56, v56, v68
	v_add_f32_e32 v58, v58, v249
	v_mul_f32_e32 v73, 0x3f6eb680, v166
	v_add_f32_e32 v56, v58, v56
	v_add_f32_e32 v58, v60, v180
	v_add_f32_e32 v56, v58, v56
	v_add_f32_e32 v58, v61, v73
	;; [unrolled: 36-line block ×4, first 2 shown]
	v_mul_f32_e32 v116, 0xbf7ba420, v168
	v_add_f32_e32 v40, v41, v40
	v_add_f32_e32 v41, v50, v132
	;; [unrolled: 1-line block ×5, first 2 shown]
	v_sub_f32_e32 v40, v94, v153
	v_add_f32_e32 v40, v40, v4
	v_add_f32_e32 v5, v7, v5
	;; [unrolled: 1-line block ×3, first 2 shown]
	buffer_load_dword v6, off, s[20:23], 0 offset:60 ; 4-byte Folded Reload
	buffer_load_dword v7, off, s[20:23], 0  ; 4-byte Folded Reload
	v_add_f32_e32 v5, v17, v5
	v_add_f32_e32 v4, v16, v4
	;; [unrolled: 1-line block ×14, first 2 shown]
	v_sub_f32_e32 v43, v226, v124
	v_add_f32_e32 v5, v11, v5
	v_add_f32_e32 v4, v10, v4
	;; [unrolled: 1-line block ×3, first 2 shown]
	v_sub_f32_e32 v43, v151, v133
	v_add_f32_e32 v5, v13, v5
	v_add_f32_e32 v4, v12, v4
	v_mul_f32_e32 v100, 0xbf59a7d5, v100
	v_add_f32_e32 v40, v43, v40
	v_sub_f32_e32 v43, v244, v127
	v_add_f32_e32 v5, v15, v5
	v_add_f32_e32 v4, v14, v4
	v_mul_f32_e32 v103, 0x3dbcf732, v103
	v_add_f32_e32 v100, v220, v100
	v_add_f32_e32 v40, v43, v40
	v_sub_f32_e32 v43, v135, v52
	v_add_f32_e32 v5, v29, v5
	v_add_f32_e32 v4, v28, v4
	v_mul_f32_e32 v166, 0x3f3d2fb0, v166
	v_add_f32_e32 v37, v100, v37
	v_add_f32_e32 v100, v222, v103
	;; [unrolled: 1-line block ×3, first 2 shown]
	v_sub_f32_e32 v43, v69, v44
	v_add_f32_e32 v5, v31, v5
	v_add_f32_e32 v4, v30, v4
	;; [unrolled: 1-line block ×4, first 2 shown]
	v_mov_b32_e32 v135, v154
	v_add_f32_e32 v40, v43, v40
	v_sub_f32_e32 v43, v137, v48
	v_add_f32_e32 v5, v33, v5
	v_add_f32_e32 v4, v32, v4
	v_mul_f32_e32 v168, 0x3ee437d1, v168
	v_add_f32_e32 v37, v100, v37
	v_add_f32_e32 v100, v224, v169
	v_mov_b32_e32 v151, v234
	v_mov_b32_e32 v136, v155
	;; [unrolled: 1-line block ×3, first 2 shown]
	v_add_f32_e32 v40, v43, v40
	v_sub_f32_e32 v42, v170, v42
	v_add_f32_e32 v5, v35, v5
	v_add_f32_e32 v4, v34, v4
	;; [unrolled: 1-line block ×4, first 2 shown]
	v_mov_b32_e32 v152, v235
	v_mov_b32_e32 v155, v237
	v_add_f32_e32 v40, v42, v40
	v_add_f32_e32 v5, v65, v5
	;; [unrolled: 1-line block ×4, first 2 shown]
	s_waitcnt vmcnt(0)
	v_lshl_add_u32 v6, v6, 3, v7
	ds_write2_b64 v6, v[4:5], v[40:41] offset1:1
	ds_write2_b64 v6, v[38:39], v[55:56] offset0:2 offset1:3
	ds_write2_b64 v6, v[92:93], v[90:91] offset0:4 offset1:5
	;; [unrolled: 1-line block ×7, first 2 shown]
	ds_write_b64 v6, v[2:3] offset:128
.LBB0_7:
	s_or_b64 exec, exec, s[0:1]
	v_add_u16_e32 v8, 34, v147
	s_movk_i32 s0, 0xf1
	v_add_u16_e32 v12, 51, v147
	v_mul_lo_u16_sdwa v9, v8, s0 dst_sel:DWORD dst_unused:UNUSED_PAD src0_sel:BYTE_0 src1_sel:DWORD
	v_mul_lo_u16_sdwa v13, v12, s0 dst_sel:DWORD dst_unused:UNUSED_PAD src0_sel:BYTE_0 src1_sel:DWORD
	v_add_u16_e32 v20, 0x55, v147
	v_lshrrev_b16_e32 v9, 12, v9
	v_lshrrev_b16_e32 v13, 12, v13
	v_mul_lo_u16_sdwa v21, v20, s0 dst_sel:DWORD dst_unused:UNUSED_PAD src0_sel:BYTE_0 src1_sel:DWORD
	v_mul_lo_u16_e32 v9, 17, v9
	v_mul_lo_u16_e32 v13, 17, v13
	v_lshrrev_b16_e32 v21, 12, v21
	v_sub_u16_e32 v80, v8, v9
	v_sub_u16_e32 v82, v12, v13
	v_add_u16_e32 v13, 0x44, v147
	v_mul_lo_u16_e32 v21, 17, v21
	v_lshlrev_b16_e32 v8, 1, v80
	v_mul_lo_u16_sdwa v14, v13, s0 dst_sel:DWORD dst_unused:UNUSED_PAD src0_sel:BYTE_0 src1_sel:DWORD
	v_sub_u16_e32 v84, v20, v21
	v_lshlrev_b32_e32 v4, 4, v147
	v_and_b32_e32 v8, 0xfe, v8
	v_lshlrev_b16_e32 v12, 1, v82
	v_lshrrev_b16_e32 v14, 12, v14
	v_lshlrev_b16_e32 v20, 1, v84
	s_waitcnt lgkmcnt(0)
	; wave barrier
	s_waitcnt lgkmcnt(0)
	global_load_dwordx4 v[4:7], v4, s[2:3]
	v_lshlrev_b32_e32 v8, 3, v8
	global_load_dwordx4 v[8:11], v8, s[2:3]
	v_and_b32_e32 v12, 0xfe, v12
	v_mul_lo_u16_e32 v14, 17, v14
	v_and_b32_e32 v20, 0xfe, v20
	v_lshlrev_b32_e32 v12, 3, v12
	v_sub_u16_e32 v83, v13, v14
	v_lshlrev_b32_e32 v20, 3, v20
	v_add_u16_e32 v21, 0x66, v147
	global_load_dwordx4 v[16:19], v12, s[2:3]
	global_load_dwordx4 v[24:27], v20, s[2:3]
	v_lshlrev_b16_e32 v12, 1, v83
	v_mul_lo_u16_sdwa v22, v21, s0 dst_sel:DWORD dst_unused:UNUSED_PAD src0_sel:BYTE_0 src1_sel:DWORD
	v_and_b32_e32 v12, 0xfe, v12
	v_lshrrev_b16_e32 v20, 12, v22
	v_add_u16_e32 v28, 0x77, v147
	v_lshlrev_b32_e32 v12, 3, v12
	v_mul_lo_u16_e32 v20, 17, v20
	v_mul_lo_u16_sdwa v29, v28, s0 dst_sel:DWORD dst_unused:UNUSED_PAD src0_sel:BYTE_0 src1_sel:DWORD
	global_load_dwordx4 v[12:15], v12, s[2:3]
	v_sub_u16_e32 v85, v21, v20
	v_lshrrev_b16_e32 v29, 12, v29
	v_lshlrev_b16_e32 v20, 1, v85
	v_mul_lo_u16_e32 v29, 17, v29
	v_and_b32_e32 v20, 0xfe, v20
	v_sub_u16_e32 v86, v28, v29
	v_lshlrev_b32_e32 v20, 3, v20
	global_load_dwordx4 v[20:23], v20, s[2:3]
	v_lshlrev_b16_e32 v28, 1, v86
	v_and_b32_e32 v28, 0xfe, v28
	v_lshlrev_b32_e32 v28, 3, v28
	global_load_dwordx4 v[28:31], v28, s[2:3]
	ds_read2_b64 v[32:35], v177 offset1:17
	ds_read2_b64 v[36:39], v177 offset0:136 offset1:153
	v_add_u32_e32 v104, 0x800, v177
	ds_read2_b64 v[40:43], v177 offset0:34 offset1:51
	ds_read2_b64 v[44:47], v177 offset0:170 offset1:187
	;; [unrolled: 1-line block ×10, first 2 shown]
	s_waitcnt lgkmcnt(0)
	; wave barrier
	s_waitcnt vmcnt(6) lgkmcnt(0)
	v_mul_f32_e32 v87, v37, v5
	v_mul_f32_e32 v88, v36, v5
	;; [unrolled: 1-line block ×3, first 2 shown]
	v_fma_f32 v87, v36, v4, -v87
	s_waitcnt vmcnt(5)
	v_mul_f32_e32 v36, v45, v9
	v_mul_f32_e32 v90, v64, v7
	;; [unrolled: 1-line block ×4, first 2 shown]
	v_fmac_f32_e32 v94, v67, v6
	v_fma_f32 v67, v44, v8, -v36
	v_mul_f32_e32 v36, v69, v11
	v_mul_f32_e32 v89, v65, v7
	v_fmac_f32_e32 v90, v65, v6
	v_fma_f32 v65, v38, v4, -v91
	v_fma_f32 v91, v68, v10, -v36
	v_mul_f32_e32 v68, v68, v11
	s_waitcnt vmcnt(4)
	v_mul_f32_e32 v36, v47, v17
	v_fmac_f32_e32 v68, v69, v10
	v_fma_f32 v69, v46, v16, -v36
	v_mul_f32_e32 v36, v71, v19
	v_fma_f32 v95, v70, v18, -v36
	v_mul_f32_e32 v70, v70, v19
	s_waitcnt vmcnt(2)
	v_mul_f32_e32 v36, v53, v13
	v_fmac_f32_e32 v70, v71, v18
	v_fma_f32 v71, v52, v12, -v36
	v_mul_f32_e32 v36, v73, v15
	v_fma_f32 v97, v72, v14, -v36
	v_mul_f32_e32 v72, v72, v15
	v_mul_f32_e32 v36, v55, v25
	v_fmac_f32_e32 v72, v73, v14
	v_fma_f32 v73, v54, v24, -v36
	v_mul_f32_e32 v36, v75, v27
	v_fma_f32 v99, v74, v26, -v36
	v_mul_f32_e32 v74, v74, v27
	s_waitcnt vmcnt(1)
	v_mul_f32_e32 v36, v61, v21
	v_fmac_f32_e32 v74, v75, v26
	v_fma_f32 v75, v60, v20, -v36
	v_mul_f32_e32 v36, v77, v23
	v_fma_f32 v64, v64, v6, -v89
	v_fma_f32 v101, v76, v22, -v36
	s_waitcnt vmcnt(0)
	v_mul_f32_e32 v36, v63, v29
	v_fmac_f32_e32 v88, v37, v4
	v_fma_f32 v102, v62, v28, -v36
	v_mul_f32_e32 v36, v79, v31
	v_add_f32_e32 v37, v87, v64
	v_mul_f32_e32 v92, v38, v5
	v_fma_f32 v105, v78, v30, -v36
	v_add_f32_e32 v36, v32, v87
	v_fma_f32 v32, -0.5, v37, v32
	v_fmac_f32_e32 v92, v39, v4
	v_sub_f32_e32 v37, v88, v90
	v_mov_b32_e32 v38, v32
	v_add_f32_e32 v39, v88, v90
	v_fma_f32 v66, v66, v6, -v93
	v_mul_f32_e32 v89, v44, v9
	v_fmac_f32_e32 v38, 0x3f5db3d7, v37
	v_fmac_f32_e32 v32, 0xbf5db3d7, v37
	v_add_f32_e32 v37, v33, v88
	v_fma_f32 v33, -0.5, v39, v33
	v_fmac_f32_e32 v89, v45, v8
	v_sub_f32_e32 v44, v87, v64
	v_mov_b32_e32 v39, v33
	v_add_f32_e32 v45, v65, v66
	v_mul_f32_e32 v93, v46, v17
	v_fmac_f32_e32 v39, 0xbf5db3d7, v44
	v_fmac_f32_e32 v33, 0x3f5db3d7, v44
	v_add_f32_e32 v44, v34, v65
	v_fma_f32 v34, -0.5, v45, v34
	v_fmac_f32_e32 v93, v47, v16
	v_sub_f32_e32 v45, v92, v94
	v_mov_b32_e32 v46, v34
	v_add_f32_e32 v47, v92, v94
	v_fmac_f32_e32 v46, 0x3f5db3d7, v45
	v_fmac_f32_e32 v34, 0xbf5db3d7, v45
	v_add_f32_e32 v45, v35, v92
	v_fmac_f32_e32 v35, -0.5, v47
	v_mul_f32_e32 v96, v52, v13
	v_add_f32_e32 v36, v36, v64
	v_add_f32_e32 v37, v37, v90
	v_sub_f32_e32 v52, v65, v66
	v_mov_b32_e32 v47, v35
	v_add_f32_e32 v44, v44, v66
	v_add_f32_e32 v45, v45, v94
	v_fmac_f32_e32 v47, 0xbf5db3d7, v52
	v_fmac_f32_e32 v35, 0x3f5db3d7, v52
	ds_write2_b64 v177, v[36:37], v[38:39] offset1:17
	ds_write2_b64 v177, v[32:33], v[44:45] offset0:34 offset1:51
	ds_write2_b64 v177, v[46:47], v[34:35] offset0:68 offset1:85
	buffer_load_dword v33, off, s[20:23], 0 ; 4-byte Folded Reload
	v_fmac_f32_e32 v96, v53, v12
	v_add_f32_e32 v53, v67, v91
	v_mul_f32_e32 v98, v54, v25
	v_add_f32_e32 v52, v40, v67
	v_fma_f32 v40, -0.5, v53, v40
	v_fmac_f32_e32 v98, v55, v24
	v_sub_f32_e32 v53, v89, v68
	v_mov_b32_e32 v54, v40
	v_add_f32_e32 v55, v89, v68
	v_mul_f32_e32 v100, v60, v21
	v_fmac_f32_e32 v54, 0x3f5db3d7, v53
	v_fmac_f32_e32 v40, 0xbf5db3d7, v53
	v_add_f32_e32 v53, v41, v89
	v_fma_f32 v41, -0.5, v55, v41
	v_fmac_f32_e32 v100, v61, v20
	v_sub_f32_e32 v60, v67, v91
	v_mov_b32_e32 v55, v41
	v_add_f32_e32 v61, v69, v95
	v_mul_f32_e32 v103, v62, v29
	v_fmac_f32_e32 v55, 0xbf5db3d7, v60
	v_fmac_f32_e32 v41, 0x3f5db3d7, v60
	v_add_f32_e32 v60, v42, v69
	v_fma_f32 v42, -0.5, v61, v42
	v_fmac_f32_e32 v103, v63, v28
	v_sub_f32_e32 v61, v93, v70
	v_mov_b32_e32 v62, v42
	v_add_f32_e32 v63, v93, v70
	v_fmac_f32_e32 v62, 0x3f5db3d7, v61
	v_fmac_f32_e32 v42, 0xbf5db3d7, v61
	v_add_f32_e32 v61, v43, v93
	v_fmac_f32_e32 v43, -0.5, v63
	v_sub_f32_e32 v64, v69, v95
	v_mov_b32_e32 v63, v43
	v_add_f32_e32 v65, v71, v97
	v_fmac_f32_e32 v63, 0xbf5db3d7, v64
	v_fmac_f32_e32 v43, 0x3f5db3d7, v64
	v_add_f32_e32 v64, v48, v71
	v_fma_f32 v48, -0.5, v65, v48
	v_sub_f32_e32 v65, v96, v72
	v_mov_b32_e32 v66, v48
	v_add_f32_e32 v67, v96, v72
	v_fmac_f32_e32 v66, 0x3f5db3d7, v65
	v_fmac_f32_e32 v48, 0xbf5db3d7, v65
	v_add_f32_e32 v65, v49, v96
	v_fma_f32 v49, -0.5, v67, v49
	v_add_f32_e32 v53, v53, v68
	v_sub_f32_e32 v68, v71, v97
	v_mov_b32_e32 v67, v49
	v_add_f32_e32 v69, v73, v99
	v_fmac_f32_e32 v67, 0xbf5db3d7, v68
	v_fmac_f32_e32 v49, 0x3f5db3d7, v68
	v_add_f32_e32 v68, v50, v73
	v_fma_f32 v50, -0.5, v69, v50
	v_add_f32_e32 v61, v61, v70
	v_sub_f32_e32 v69, v98, v74
	v_mov_b32_e32 v70, v50
	v_add_f32_e32 v71, v98, v74
	v_fmac_f32_e32 v70, 0x3f5db3d7, v69
	v_fmac_f32_e32 v50, 0xbf5db3d7, v69
	v_add_f32_e32 v69, v51, v98
	v_fmac_f32_e32 v51, -0.5, v71
	v_mul_f32_e32 v76, v76, v23
	v_add_f32_e32 v65, v65, v72
	v_sub_f32_e32 v72, v73, v99
	v_mov_b32_e32 v71, v51
	v_add_f32_e32 v73, v75, v101
	v_and_b32_e32 v32, 0xff, v80
	v_fmac_f32_e32 v76, v77, v22
	v_fmac_f32_e32 v71, 0xbf5db3d7, v72
	;; [unrolled: 1-line block ×3, first 2 shown]
	v_add_f32_e32 v72, v56, v75
	v_fma_f32 v56, -0.5, v73, v56
	v_add_f32_e32 v69, v69, v74
	v_sub_f32_e32 v73, v100, v76
	v_mov_b32_e32 v74, v56
	v_fmac_f32_e32 v74, 0x3f5db3d7, v73
	v_fmac_f32_e32 v56, 0xbf5db3d7, v73
	v_add_f32_e32 v73, v57, v100
	v_add_f32_e32 v73, v73, v76
	s_waitcnt vmcnt(0)
	v_lshl_add_u32 v153, v32, 3, v33
	v_and_b32_e32 v32, 0xff, v82
	v_lshl_add_u32 v159, v32, 3, v33
	v_and_b32_e32 v32, 0xff, v83
	;; [unrolled: 2-line block ×3, first 2 shown]
	v_add_f32_e32 v76, v100, v76
	v_lshl_add_u32 v186, v32, 3, v33
	v_add_f32_e32 v52, v52, v91
	v_add_f32_e32 v60, v60, v95
	v_add_f32_e32 v64, v64, v97
	v_add_f32_e32 v68, v68, v99
	v_fma_f32 v57, -0.5, v76, v57
	v_add_u32_e32 v32, 0x400, v186
	v_mul_f32_e32 v106, v78, v31
	v_sub_f32_e32 v76, v75, v101
	v_mov_b32_e32 v75, v57
	v_add_f32_e32 v77, v102, v105
	ds_write2_b64 v153, v[52:53], v[54:55] offset0:102 offset1:119
	ds_write_b64 v153, v[40:41] offset:1088
	ds_write2_b64 v159, v[60:61], v[62:63] offset0:153 offset1:170
	ds_write_b64 v159, v[42:43] offset:1496
	;; [unrolled: 2-line block ×4, first 2 shown]
	v_and_b32_e32 v32, 0xff, v85
	v_fmac_f32_e32 v106, v79, v30
	v_fmac_f32_e32 v75, 0xbf5db3d7, v76
	;; [unrolled: 1-line block ×3, first 2 shown]
	v_add_f32_e32 v76, v58, v102
	v_fma_f32 v58, -0.5, v77, v58
	v_lshl_add_u32 v187, v32, 3, v33
	v_add_f32_e32 v72, v72, v101
	v_sub_f32_e32 v77, v103, v106
	v_mov_b32_e32 v78, v58
	v_add_f32_e32 v79, v103, v106
	v_add_u32_e32 v32, 0x800, v187
	v_mad_u64_u32 v[52:53], s[0:1], v147, 56, s[2:3]
	v_fmac_f32_e32 v78, 0x3f5db3d7, v77
	v_fmac_f32_e32 v58, 0xbf5db3d7, v77
	v_add_f32_e32 v77, v59, v103
	v_fmac_f32_e32 v59, -0.5, v79
	ds_write2_b64 v32, v[72:73], v[74:75] offset0:50 offset1:67
	ds_write_b64 v187, v[56:57] offset:2720
	v_and_b32_e32 v32, 0xff, v86
	v_sub_f32_e32 v87, v102, v105
	v_mov_b32_e32 v79, v59
	v_lshl_add_u32 v188, v32, 3, v33
	v_add_f32_e32 v76, v76, v105
	v_add_f32_e32 v77, v77, v106
	v_fmac_f32_e32 v79, 0xbf5db3d7, v87
	v_fmac_f32_e32 v59, 0x3f5db3d7, v87
	v_add_u32_e32 v32, 0x800, v188
	ds_write2_b64 v32, v[76:77], v[78:79] offset0:101 offset1:118
	ds_write_b64 v188, v[58:59] offset:3128
	s_waitcnt lgkmcnt(0)
	; wave barrier
	s_waitcnt lgkmcnt(0)
	global_load_dwordx4 v[48:51], v[52:53], off offset:272
	global_load_dwordx4 v[40:43], v[52:53], off offset:288
	;; [unrolled: 1-line block ×3, first 2 shown]
	global_load_dwordx2 v[165:166], v[52:53], off offset:320
	global_load_dwordx4 v[60:63], v[52:53], off offset:1224
	global_load_dwordx4 v[44:47], v[52:53], off offset:1240
	;; [unrolled: 1-line block ×3, first 2 shown]
	global_load_dwordx2 v[167:168], v[52:53], off offset:1272
	global_load_dwordx4 v[64:67], v[52:53], off offset:2176
	global_load_dwordx4 v[56:59], v[52:53], off offset:2192
	ds_read2_b64 v[68:71], v177 offset1:17
	ds_read2_b64 v[72:75], v177 offset0:34 offset1:51
	ds_read2_b64 v[76:79], v177 offset0:102 offset1:119
	;; [unrolled: 1-line block ×4, first 2 shown]
	global_load_dwordx2 v[169:170], v[52:53], off offset:2224
	s_nop 0
	global_load_dwordx4 v[52:55], v[52:53], off offset:2208
	ds_read2_b64 v[90:93], v177 offset0:238 offset1:255
	ds_read2_b64 v[94:97], v104 offset0:50 offset1:67
	ds_read2_b64 v[98:101], v104 offset0:84 offset1:101
	ds_read2_b64 v[105:108], v177 offset0:68 offset1:85
	ds_read2_b64 v[171:174], v177 offset0:170 offset1:187
	ds_read2_b64 v[192:195], v104 offset0:16 offset1:33
	ds_read2_b64 v[196:199], v104 offset0:118 offset1:135
	s_add_u32 s0, s12, 0xcc0
	s_addc_u32 s1, s13, 0
	s_waitcnt vmcnt(11) lgkmcnt(10)
	v_mul_f32_e32 v80, v75, v49
	v_fma_f32 v80, v74, v48, -v80
	v_mul_f32_e32 v74, v74, v49
	v_fmac_f32_e32 v74, v75, v48
	s_waitcnt lgkmcnt(9)
	v_mul_f32_e32 v75, v77, v51
	v_fma_f32 v75, v76, v50, -v75
	v_mul_f32_e32 v76, v76, v51
	v_fmac_f32_e32 v76, v77, v50
	s_waitcnt vmcnt(10) lgkmcnt(8)
	v_mul_f32_e32 v77, v85, v41
	v_fma_f32 v77, v84, v40, -v77
	v_mul_f32_e32 v84, v84, v41
	v_fmac_f32_e32 v84, v85, v40
	s_waitcnt lgkmcnt(7)
	v_mul_f32_e32 v85, v87, v43
	v_fma_f32 v85, v86, v42, -v85
	v_mul_f32_e32 v86, v86, v43
	v_fmac_f32_e32 v86, v87, v42
	;; [unrolled: 10-line block ×3, first 2 shown]
	s_waitcnt vmcnt(8) lgkmcnt(4)
	v_mul_f32_e32 v95, v101, v166
	v_fma_f32 v95, v100, v165, -v95
	v_mul_f32_e32 v100, v100, v166
	s_waitcnt vmcnt(7) lgkmcnt(3)
	v_mul_f32_e32 v102, v105, v61
	v_fmac_f32_e32 v100, v101, v165
	v_mul_f32_e32 v101, v106, v61
	v_fmac_f32_e32 v102, v106, v60
	s_waitcnt vmcnt(6)
	v_mul_f32_e32 v106, v89, v47
	v_fma_f32 v106, v88, v46, -v106
	v_mul_f32_e32 v109, v88, v47
	s_waitcnt vmcnt(5) lgkmcnt(1)
	v_mul_f32_e32 v88, v193, v37
	v_fma_f32 v110, v192, v36, -v88
	v_mul_f32_e32 v88, v97, v39
	v_mul_f32_e32 v103, v79, v63
	v_fma_f32 v114, v96, v38, -v88
	s_waitcnt vmcnt(4) lgkmcnt(0)
	v_mul_f32_e32 v88, v197, v168
	v_fma_f32 v103, v78, v62, -v103
	v_mul_f32_e32 v78, v78, v63
	v_fma_f32 v116, v196, v167, -v88
	s_waitcnt vmcnt(3)
	v_mul_f32_e32 v88, v108, v65
	v_fma_f32 v101, v105, v60, -v101
	v_fmac_f32_e32 v78, v79, v62
	v_mul_f32_e32 v79, v172, v45
	v_mul_f32_e32 v105, v171, v45
	v_fma_f32 v118, v107, v64, -v88
	v_mul_f32_e32 v88, v83, v67
	v_fma_f32 v79, v171, v44, -v79
	v_fmac_f32_e32 v105, v172, v44
	v_fma_f32 v171, v82, v66, -v88
	v_mul_f32_e32 v172, v82, v67
	s_waitcnt vmcnt(2)
	v_mul_f32_e32 v82, v174, v57
	v_fma_f32 v176, v173, v56, -v82
	v_mul_f32_e32 v82, v91, v59
	v_fma_f32 v178, v90, v58, -v82
	s_waitcnt vmcnt(0)
	v_mul_f32_e32 v82, v195, v53
	v_fma_f32 v180, v194, v52, -v82
	v_mul_f32_e32 v82, v99, v55
	v_fma_f32 v183, v98, v54, -v82
	v_mul_f32_e32 v82, v199, v170
	v_mul_f32_e32 v115, v96, v39
	v_fmac_f32_e32 v172, v83, v66
	v_mul_f32_e32 v181, v194, v53
	v_fma_f32 v194, v198, v169, -v82
	v_sub_f32_e32 v82, v68, v85
	v_sub_f32_e32 v83, v69, v86
	;; [unrolled: 1-line block ×3, first 2 shown]
	v_fmac_f32_e32 v109, v89, v46
	v_fmac_f32_e32 v115, v97, v38
	v_mul_f32_e32 v179, v90, v59
	v_mul_f32_e32 v184, v98, v55
	v_sub_f32_e32 v86, v76, v94
	v_sub_f32_e32 v87, v80, v87
	v_sub_f32_e32 v88, v74, v92
	v_sub_f32_e32 v89, v77, v95
	v_sub_f32_e32 v90, v84, v100
	v_add_f32_e32 v97, v83, v85
	v_fmac_f32_e32 v184, v99, v54
	v_sub_f32_e32 v96, v82, v86
	v_fma_f32 v92, v83, 2.0, -v97
	v_sub_f32_e32 v98, v87, v90
	v_add_f32_e32 v99, v88, v89
	v_fmac_f32_e32 v179, v91, v58
	v_fma_f32 v68, v68, 2.0, -v82
	v_fma_f32 v69, v69, 2.0, -v83
	;; [unrolled: 1-line block ×11, first 2 shown]
	v_mov_b32_e32 v87, v92
	v_sub_f32_e32 v75, v68, v75
	v_sub_f32_e32 v76, v69, v76
	;; [unrolled: 1-line block ×4, first 2 shown]
	v_mov_b32_e32 v86, v91
	v_fmac_f32_e32 v87, 0xbf3504f3, v88
	v_fma_f32 v68, v68, 2.0, -v75
	v_fma_f32 v69, v69, 2.0, -v76
	;; [unrolled: 1-line block ×4, first 2 shown]
	v_fmac_f32_e32 v86, 0xbf3504f3, v89
	v_fmac_f32_e32 v87, 0x3f3504f3, v89
	v_sub_f32_e32 v90, v75, v93
	v_mul_f32_e32 v111, v192, v37
	v_mul_f32_e32 v117, v196, v168
	v_sub_f32_e32 v82, v68, v80
	v_sub_f32_e32 v83, v69, v74
	v_fmac_f32_e32 v86, 0xbf3504f3, v88
	v_fma_f32 v89, v92, 2.0, -v87
	v_fma_f32 v92, v75, 2.0, -v90
	v_mov_b32_e32 v95, v97
	v_sub_f32_e32 v75, v78, v115
	v_fmac_f32_e32 v111, v193, v36
	v_fmac_f32_e32 v117, v197, v167
	v_fma_f32 v84, v68, 2.0, -v82
	v_fma_f32 v85, v69, 2.0, -v83
	;; [unrolled: 1-line block ×3, first 2 shown]
	v_add_f32_e32 v91, v76, v77
	v_mov_b32_e32 v94, v96
	v_fmac_f32_e32 v95, 0x3f3504f3, v99
	v_sub_f32_e32 v68, v70, v106
	v_sub_f32_e32 v69, v71, v109
	;; [unrolled: 1-line block ×3, first 2 shown]
	v_fma_f32 v77, v78, 2.0, -v75
	v_sub_f32_e32 v78, v101, v110
	v_fma_f32 v93, v76, 2.0, -v91
	v_fmac_f32_e32 v94, 0x3f3504f3, v98
	v_fmac_f32_e32 v95, 0x3f3504f3, v98
	v_fma_f32 v76, v103, 2.0, -v74
	v_sub_f32_e32 v80, v102, v111
	v_fma_f32 v98, v101, 2.0, -v78
	v_sub_f32_e32 v100, v79, v116
	v_sub_f32_e32 v101, v105, v117
	;; [unrolled: 1-line block ×3, first 2 shown]
	v_add_f32_e32 v74, v69, v74
	v_fmac_f32_e32 v94, 0xbf3504f3, v99
	v_fma_f32 v70, v70, 2.0, -v68
	v_fma_f32 v71, v71, 2.0, -v69
	;; [unrolled: 1-line block ×6, first 2 shown]
	v_sub_f32_e32 v111, v78, v101
	v_add_f32_e32 v114, v80, v100
	v_mul_f32_e32 v119, v107, v65
	v_fma_f32 v79, v79, 2.0, -v100
	v_sub_f32_e32 v107, v99, v102
	v_fma_f32 v78, v78, 2.0, -v111
	v_fma_f32 v80, v80, 2.0, -v114
	v_mov_b32_e32 v102, v68
	v_mov_b32_e32 v103, v69
	v_mul_f32_e32 v173, v173, v57
	v_sub_f32_e32 v76, v70, v76
	v_sub_f32_e32 v77, v71, v77
	;; [unrolled: 1-line block ×3, first 2 shown]
	v_fmac_f32_e32 v102, 0xbf3504f3, v78
	v_fmac_f32_e32 v103, 0xbf3504f3, v80
	;; [unrolled: 1-line block ×4, first 2 shown]
	v_mul_f32_e32 v195, v198, v170
	v_fma_f32 v70, v70, 2.0, -v76
	v_fma_f32 v71, v71, 2.0, -v77
	;; [unrolled: 1-line block ×4, first 2 shown]
	v_fmac_f32_e32 v102, 0xbf3504f3, v80
	v_fmac_f32_e32 v103, 0x3f3504f3, v78
	v_mov_b32_e32 v174, v75
	v_mov_b32_e32 v175, v74
	v_fmac_f32_e32 v119, v108, v64
	v_fmac_f32_e32 v195, v199, v169
	v_sub_f32_e32 v98, v70, v98
	v_sub_f32_e32 v99, v71, v99
	v_fma_f32 v105, v68, 2.0, -v102
	v_fma_f32 v106, v69, 2.0, -v103
	v_sub_f32_e32 v107, v76, v107
	v_add_f32_e32 v108, v77, v79
	v_fmac_f32_e32 v174, 0x3f3504f3, v111
	v_fmac_f32_e32 v175, 0x3f3504f3, v114
	v_sub_f32_e32 v68, v72, v178
	v_sub_f32_e32 v69, v73, v179
	v_fma_f32 v100, v70, 2.0, -v98
	v_fma_f32 v101, v71, 2.0, -v99
	;; [unrolled: 1-line block ×4, first 2 shown]
	v_fmac_f32_e32 v174, 0xbf3504f3, v114
	v_fmac_f32_e32 v175, 0x3f3504f3, v111
	v_fma_f32 v70, v72, 2.0, -v68
	v_fma_f32 v71, v73, 2.0, -v69
	v_sub_f32_e32 v72, v171, v183
	v_sub_f32_e32 v73, v172, v184
	;; [unrolled: 1-line block ×6, first 2 shown]
	v_fma_f32 v192, v75, 2.0, -v174
	v_fma_f32 v193, v74, 2.0, -v175
	;; [unrolled: 1-line block ×8, first 2 shown]
	v_sub_f32_e32 v74, v70, v74
	v_sub_f32_e32 v75, v71, v75
	;; [unrolled: 1-line block ×3, first 2 shown]
	v_add_f32_e32 v117, v69, v72
	v_sub_f32_e32 v114, v78, v114
	v_sub_f32_e32 v115, v79, v115
	v_fma_f32 v70, v70, 2.0, -v74
	v_fma_f32 v71, v71, 2.0, -v75
	;; [unrolled: 1-line block ×6, first 2 shown]
	v_sub_f32_e32 v111, v76, v111
	v_add_f32_e32 v80, v77, v80
	v_sub_f32_e32 v68, v70, v68
	v_sub_f32_e32 v69, v71, v69
	v_fma_f32 v76, v76, 2.0, -v111
	v_fma_f32 v77, v77, 2.0, -v80
	;; [unrolled: 1-line block ×4, first 2 shown]
	v_mov_b32_e32 v70, v72
	v_mov_b32_e32 v71, v73
	;; [unrolled: 1-line block ×4, first 2 shown]
	v_fmac_f32_e32 v70, 0xbf3504f3, v76
	v_fmac_f32_e32 v71, 0xbf3504f3, v77
	;; [unrolled: 1-line block ×4, first 2 shown]
	v_lshl_add_u32 v173, v182, 3, v81
	v_fma_f32 v96, v96, 2.0, -v94
	v_fma_f32 v97, v97, 2.0, -v95
	v_fmac_f32_e32 v70, 0xbf3504f3, v77
	v_fmac_f32_e32 v71, 0x3f3504f3, v76
	v_sub_f32_e32 v76, v74, v115
	v_add_f32_e32 v77, v75, v114
	v_fmac_f32_e32 v78, 0xbf3504f3, v80
	v_fmac_f32_e32 v79, 0x3f3504f3, v111
	ds_write2_b64 v177, v[88:89], v[92:93] offset0:51 offset1:102
	ds_write2_b64 v177, v[96:97], v[82:83] offset0:153 offset1:204
	v_add_u32_e32 v88, 0x400, v177
	v_add_u32_e32 v80, 0x800, v173
	v_fma_f32 v171, v72, 2.0, -v70
	v_fma_f32 v172, v73, 2.0, -v71
	;; [unrolled: 1-line block ×6, first 2 shown]
	ds_write2_b64 v88, v[86:87], v[90:91] offset0:127 offset1:178
	ds_write_b64 v177, v[94:95] offset:2856
	ds_write2_b64 v177, v[84:85], v[100:101] offset1:17
	ds_write_b64 v177, v[194:195] offset:272
	ds_write2_b64 v173, v[105:106], v[171:172] offset0:68 offset1:85
	ds_write2_b64 v173, v[109:110], v[72:73] offset0:119 offset1:136
	;; [unrolled: 1-line block ×7, first 2 shown]
	s_waitcnt lgkmcnt(0)
	; wave barrier
	s_waitcnt lgkmcnt(0)
	global_load_dwordx2 v[85:86], v[112:113], off offset:3264
	v_lshlrev_b32_e32 v80, 3, v147
	global_load_dwordx2 v[93:94], v80, s[0:1] offset:192
	global_load_dwordx2 v[95:96], v80, s[0:1] offset:384
	;; [unrolled: 1-line block ×16, first 2 shown]
	ds_read2_b64 v[81:84], v177 offset1:24
	ds_read2_b64 v[89:92], v177 offset0:48 offset1:72
	s_waitcnt vmcnt(16) lgkmcnt(1)
	v_mul_f32_e32 v87, v82, v86
	v_mul_f32_e32 v207, v81, v86
	v_fma_f32 v206, v81, v85, -v87
	v_fmac_f32_e32 v207, v82, v85
	s_waitcnt vmcnt(15)
	v_mul_f32_e32 v81, v84, v94
	v_mul_f32_e32 v82, v83, v94
	v_fma_f32 v81, v83, v93, -v81
	v_fmac_f32_e32 v82, v84, v93
	ds_write2_b64 v177, v[206:207], v[81:82] offset1:24
	s_waitcnt vmcnt(14) lgkmcnt(1)
	v_mul_f32_e32 v81, v90, v96
	v_fma_f32 v85, v89, v95, -v81
	v_mul_f32_e32 v86, v89, v96
	ds_read2_b64 v[81:84], v177 offset0:96 offset1:120
	v_fmac_f32_e32 v86, v90, v95
	s_waitcnt vmcnt(13)
	v_mul_f32_e32 v87, v92, v98
	v_mul_f32_e32 v90, v91, v98
	v_fma_f32 v89, v91, v97, -v87
	v_fmac_f32_e32 v90, v92, v97
	ds_write2_b64 v177, v[85:86], v[89:90] offset0:48 offset1:72
	ds_read2_b64 v[89:92], v177 offset0:144 offset1:168
	s_waitcnt vmcnt(12) lgkmcnt(2)
	v_mul_f32_e32 v85, v82, v100
	v_mul_f32_e32 v86, v81, v100
	v_fma_f32 v85, v81, v99, -v85
	v_fmac_f32_e32 v86, v82, v99
	s_waitcnt vmcnt(11)
	v_mul_f32_e32 v81, v84, v102
	v_mul_f32_e32 v82, v83, v102
	v_fma_f32 v81, v83, v101, -v81
	v_fmac_f32_e32 v82, v84, v101
	ds_write2_b64 v177, v[85:86], v[81:82] offset0:96 offset1:120
	s_waitcnt vmcnt(10) lgkmcnt(1)
	v_mul_f32_e32 v81, v90, v106
	v_fma_f32 v85, v89, v105, -v81
	v_mul_f32_e32 v86, v89, v106
	ds_read2_b64 v[81:84], v177 offset0:192 offset1:216
	v_fmac_f32_e32 v86, v90, v105
	s_waitcnt vmcnt(9)
	v_mul_f32_e32 v87, v92, v108
	v_mul_f32_e32 v90, v91, v108
	v_fma_f32 v89, v91, v107, -v87
	v_fmac_f32_e32 v90, v92, v107
	ds_write2_b64 v177, v[85:86], v[89:90] offset0:144 offset1:168
	ds_read2_b64 v[89:92], v88 offset0:112 offset1:136
	s_waitcnt vmcnt(8) lgkmcnt(2)
	v_mul_f32_e32 v85, v82, v110
	v_mul_f32_e32 v86, v81, v110
	v_fma_f32 v85, v81, v109, -v85
	v_fmac_f32_e32 v86, v82, v109
	s_waitcnt vmcnt(7)
	v_mul_f32_e32 v81, v84, v175
	v_mul_f32_e32 v82, v83, v175
	v_fma_f32 v81, v83, v174, -v81
	v_fmac_f32_e32 v82, v84, v174
	ds_write2_b64 v177, v[85:86], v[81:82] offset0:192 offset1:216
	s_waitcnt vmcnt(6) lgkmcnt(1)
	v_mul_f32_e32 v81, v90, v193
	v_fma_f32 v85, v89, v192, -v81
	ds_read2_b64 v[81:84], v104 offset0:32 offset1:56
	v_mul_f32_e32 v86, v89, v193
	v_fmac_f32_e32 v86, v90, v192
	s_waitcnt vmcnt(5)
	v_mul_f32_e32 v87, v92, v195
	v_mul_f32_e32 v90, v91, v195
	v_fma_f32 v89, v91, v194, -v87
	v_fmac_f32_e32 v90, v92, v194
	ds_write2_b64 v88, v[85:86], v[89:90] offset0:112 offset1:136
	s_waitcnt vmcnt(4) lgkmcnt(1)
	v_mul_f32_e32 v85, v82, v197
	v_mul_f32_e32 v86, v81, v197
	ds_read2_b64 v[89:92], v104 offset0:80 offset1:104
	v_fma_f32 v85, v81, v196, -v85
	v_fmac_f32_e32 v86, v82, v196
	s_waitcnt vmcnt(3)
	v_mul_f32_e32 v81, v84, v199
	v_mul_f32_e32 v82, v83, v199
	v_fma_f32 v81, v83, v198, -v81
	v_fmac_f32_e32 v82, v84, v198
	ds_read_b64 v[83:84], v177 offset:3072
	ds_write2_b64 v104, v[85:86], v[81:82] offset0:32 offset1:56
	s_waitcnt vmcnt(2) lgkmcnt(2)
	v_mul_f32_e32 v81, v90, v201
	v_mul_f32_e32 v82, v89, v201
	s_waitcnt vmcnt(1)
	v_mul_f32_e32 v85, v92, v203
	v_mul_f32_e32 v86, v91, v203
	v_fma_f32 v81, v89, v200, -v81
	v_fmac_f32_e32 v82, v90, v200
	v_fma_f32 v85, v91, v202, -v85
	v_fmac_f32_e32 v86, v92, v202
	ds_write2_b64 v104, v[81:82], v[85:86] offset0:80 offset1:104
	s_waitcnt vmcnt(0) lgkmcnt(2)
	v_mul_f32_e32 v81, v84, v205
	v_mul_f32_e32 v82, v83, v205
	v_fma_f32 v81, v83, v204, -v81
	v_fmac_f32_e32 v82, v84, v204
	ds_write_b64 v177, v[81:82] offset:3072
	s_and_saveexec_b64 s[2:3], vcc
	s_cbranch_execz .LBB0_9
; %bb.8:
	v_mov_b32_e32 v81, s1
	v_add_co_u32_e64 v89, s[0:1], s0, v80
	v_addc_co_u32_e64 v90, s[0:1], 0, v81, s[0:1]
	global_load_dwordx2 v[101:102], v[89:90], off offset:136
	global_load_dwordx2 v[109:110], v[89:90], off offset:328
	;; [unrolled: 1-line block ×16, first 2 shown]
	ds_read2_b64 v[80:83], v177 offset0:17 offset1:41
	ds_read2_b64 v[84:87], v177 offset0:65 offset1:89
	global_load_dwordx2 v[222:223], v[89:90], off offset:3208
	ds_read2_b64 v[89:92], v177 offset0:113 offset1:137
	ds_read2_b64 v[93:96], v177 offset0:161 offset1:185
	ds_read2_b64 v[97:100], v177 offset0:209 offset1:233
	ds_read2_b64 v[105:108], v104 offset0:1 offset1:25
	ds_read2_b64 v[192:195], v104 offset0:49 offset1:73
	s_waitcnt vmcnt(16) lgkmcnt(6)
	v_mul_f32_e32 v114, v81, v102
	v_mul_f32_e32 v103, v80, v102
	s_waitcnt vmcnt(15)
	v_mul_f32_e32 v115, v83, v110
	v_mul_f32_e32 v111, v82, v110
	s_waitcnt vmcnt(14) lgkmcnt(5)
	v_mul_f32_e32 v116, v85, v175
	v_mul_f32_e32 v176, v84, v175
	s_waitcnt vmcnt(13)
	v_mul_f32_e32 v117, v87, v197
	v_mul_f32_e32 v225, v86, v197
	;; [unrolled: 6-line block ×6, first 2 shown]
	v_fma_f32 v102, v80, v101, -v114
	v_fmac_f32_e32 v103, v81, v101
	v_fma_f32 v110, v82, v109, -v115
	v_fmac_f32_e32 v111, v83, v109
	;; [unrolled: 2-line block ×12, first 2 shown]
	ds_write2_b64 v177, v[102:103], v[110:111] offset0:17 offset1:41
	ds_write2_b64 v177, v[175:176], v[224:225] offset0:65 offset1:89
	;; [unrolled: 1-line block ×6, first 2 shown]
	ds_read2_b64 v[80:83], v104 offset0:97 offset1:121
	s_waitcnt vmcnt(4) lgkmcnt(7)
	v_mul_f32_e32 v213, v193, v215
	v_mul_f32_e32 v85, v192, v215
	s_waitcnt vmcnt(3)
	v_mul_f32_e32 v86, v195, v217
	v_mul_f32_e32 v87, v194, v217
	v_fma_f32 v84, v192, v214, -v213
	v_fmac_f32_e32 v85, v193, v214
	v_fma_f32 v86, v194, v216, -v86
	v_fmac_f32_e32 v87, v195, v216
	ds_write2_b64 v104, v[84:85], v[86:87] offset0:49 offset1:73
	s_waitcnt vmcnt(2) lgkmcnt(1)
	v_mul_f32_e32 v84, v81, v219
	v_mul_f32_e32 v85, v80, v219
	v_fma_f32 v84, v80, v218, -v84
	v_fmac_f32_e32 v85, v81, v218
	ds_read_b64 v[80:81], v177 offset:3208
	s_waitcnt vmcnt(1)
	v_mul_f32_e32 v86, v83, v221
	v_mul_f32_e32 v87, v82, v221
	v_fma_f32 v86, v82, v220, -v86
	v_fmac_f32_e32 v87, v83, v220
	s_waitcnt vmcnt(0) lgkmcnt(0)
	v_mul_f32_e32 v82, v81, v223
	v_mul_f32_e32 v83, v80, v223
	v_fma_f32 v82, v80, v222, -v82
	v_fmac_f32_e32 v83, v81, v222
	ds_write2_b64 v104, v[84:85], v[86:87] offset0:97 offset1:121
	ds_write_b64 v177, v[82:83] offset:3208
.LBB0_9:
	s_or_b64 exec, exec, s[2:3]
	s_waitcnt lgkmcnt(0)
	; wave barrier
	s_waitcnt lgkmcnt(0)
	ds_read2_b64 v[108:111], v177 offset1:24
	ds_read2_b64 v[100:103], v177 offset0:48 offset1:72
	ds_read2_b64 v[92:95], v177 offset0:96 offset1:120
	ds_read2_b64 v[84:87], v177 offset0:144 offset1:168
	ds_read2_b64 v[80:83], v177 offset0:192 offset1:216
	ds_read2_b64 v[88:91], v88 offset0:112 offset1:136
	ds_read2_b64 v[96:99], v104 offset0:32 offset1:56
	ds_read2_b64 v[104:107], v104 offset0:80 offset1:104
	ds_read_b64 v[175:176], v177 offset:3072
	s_and_saveexec_b64 s[0:1], vcc
	s_cbranch_execz .LBB0_11
; %bb.10:
	buffer_load_dword v0, off, s[20:23], 0  ; 4-byte Folded Reload
	ds_read_b64 v[171:172], v177 offset:136
	s_waitcnt vmcnt(0)
	v_lshl_add_u32 v0, v147, 3, v0
	v_add_u32_e32 v1, 0x400, v0
	ds_read2_b64 v[72:75], v0 offset0:41 offset1:65
	ds_read2_b64 v[68:71], v0 offset0:89 offset1:113
	;; [unrolled: 1-line block ×5, first 2 shown]
	v_add_u32_e32 v0, 0x800, v0
	ds_read2_b64 v[155:158], v0 offset0:25 offset1:49
	ds_read2_b64 v[196:199], v0 offset0:73 offset1:97
	ds_read2_b64 v[0:3], v0 offset0:121 offset1:145
	s_waitcnt lgkmcnt(4)
	v_mov_b32_e32 v161, v194
	s_waitcnt lgkmcnt(3)
	v_mov_b32_e32 v163, v149
	v_mov_b32_e32 v164, v150
	v_mov_b32_e32 v125, v151
	v_mov_b32_e32 v126, v152
	s_waitcnt lgkmcnt(2)
	v_mov_b32_e32 v154, v155
	v_mov_b32_e32 v155, v156
	v_mov_b32_e32 v151, v157
	v_mov_b32_e32 v152, v158
	s_waitcnt lgkmcnt(1)
	v_mov_b32_e32 v135, v196
	v_mov_b32_e32 v136, v197
	v_mov_b32_e32 v149, v198
	v_mov_b32_e32 v150, v199
	v_mov_b32_e32 v162, v195
	;; [unrolled: 1-line block ×4, first 2 shown]
.LBB0_11:
	s_or_b64 exec, exec, s[0:1]
	s_waitcnt lgkmcnt(8)
	v_add_f32_e32 v115, v109, v111
	v_add_f32_e32 v114, v108, v110
	s_waitcnt lgkmcnt(7)
	v_add_f32_e32 v115, v115, v101
	v_add_f32_e32 v114, v114, v100
	v_add_f32_e32 v115, v115, v103
	v_add_f32_e32 v114, v114, v102
	s_waitcnt lgkmcnt(6)
	v_add_f32_e32 v115, v115, v93
	v_add_f32_e32 v114, v114, v92
	;; [unrolled: 5-line block ×8, first 2 shown]
	v_sub_f32_e32 v111, v111, v176
	v_add_u32_e32 v182, 0x88, v173
	v_add_u32_e32 v156, 0x110, v173
	v_add_f32_e32 v173, v114, v175
	v_add_f32_e32 v114, v175, v110
	v_sub_f32_e32 v110, v110, v175
	v_mul_f32_e32 v116, 0xbeb8f4ab, v111
	v_mul_f32_e32 v175, 0xbf2c7751, v111
	;; [unrolled: 1-line block ×8, first 2 shown]
	s_mov_b32 s2, 0x3f6eb680
	v_mov_b32_e32 v117, v116
	s_mov_b32 s3, 0x3f3d2fb0
	v_mov_b32_e32 v176, v175
	v_mov_b32_e32 v181, v180
	;; [unrolled: 1-line block ×3, first 2 shown]
	s_mov_b32 s12, 0xbe8c1d8e
	v_mov_b32_e32 v199, v198
	s_mov_b32 s13, 0xbf1a4643
	v_mov_b32_e32 v203, v202
	s_mov_b32 s14, 0xbf59a7d5
	v_mov_b32_e32 v207, v206
	s_mov_b32 s15, 0xbf7ba420
	v_mov_b32_e32 v210, v111
	v_fmac_f32_e32 v117, 0x3f6eb680, v114
	v_mul_f32_e32 v118, 0x3f6eb680, v115
	v_fma_f32 v116, v114, s2, -v116
	v_fmac_f32_e32 v176, 0x3f3d2fb0, v114
	v_mul_f32_e32 v178, 0x3f3d2fb0, v115
	v_fma_f32 v175, v114, s3, -v175
	;; [unrolled: 3-line block ×8, first 2 shown]
	v_add_f32_e32 v117, v108, v117
	v_mov_b32_e32 v119, v118
	v_add_f32_e32 v116, v108, v116
	v_add_f32_e32 v176, v108, v176
	v_mov_b32_e32 v179, v178
	v_add_f32_e32 v175, v108, v175
	;; [unrolled: 3-line block ×8, first 2 shown]
	v_add_f32_e32 v111, v107, v101
	v_sub_f32_e32 v101, v101, v107
	v_fmac_f32_e32 v119, 0x3eb8f4ab, v110
	v_fmac_f32_e32 v118, 0xbeb8f4ab, v110
	;; [unrolled: 1-line block ×16, first 2 shown]
	v_add_f32_e32 v110, v106, v100
	v_sub_f32_e32 v100, v100, v106
	v_mul_f32_e32 v106, 0xbf2c7751, v101
	v_mov_b32_e32 v107, v106
	v_fma_f32 v106, v110, s3, -v106
	v_fmac_f32_e32 v107, 0x3f3d2fb0, v110
	v_mul_f32_e32 v114, 0x3f3d2fb0, v111
	v_add_f32_e32 v106, v106, v116
	v_mul_f32_e32 v116, 0xbf7ee86f, v101
	v_add_f32_e32 v119, v109, v119
	v_add_f32_e32 v118, v109, v118
	;; [unrolled: 1-line block ×17, first 2 shown]
	v_mov_b32_e32 v115, v114
	v_fmac_f32_e32 v114, 0xbf2c7751, v100
	v_mov_b32_e32 v117, v116
	v_fma_f32 v116, v110, s5, -v116
	v_fmac_f32_e32 v115, 0x3f2c7751, v100
	v_add_f32_e32 v114, v114, v118
	v_fmac_f32_e32 v117, 0x3dbcf732, v110
	v_mul_f32_e32 v118, 0x3dbcf732, v111
	v_add_f32_e32 v116, v116, v175
	v_mul_f32_e32 v175, 0xbf4c4adb, v101
	v_add_f32_e32 v115, v115, v119
	v_add_f32_e32 v117, v117, v176
	v_mov_b32_e32 v119, v118
	v_fmac_f32_e32 v118, 0xbf7ee86f, v100
	v_mov_b32_e32 v176, v175
	v_fma_f32 v175, v110, s13, -v175
	v_fmac_f32_e32 v119, 0x3f7ee86f, v100
	v_add_f32_e32 v118, v118, v178
	v_fmac_f32_e32 v176, 0xbf1a4643, v110
	v_mul_f32_e32 v178, 0xbf1a4643, v111
	v_add_f32_e32 v175, v175, v180
	v_mul_f32_e32 v180, 0xbe3c28d5, v101
	v_add_f32_e32 v119, v119, v179
	v_add_f32_e32 v176, v176, v181
	;; [unrolled: 12-line block ×5, first 2 shown]
	v_mov_b32_e32 v201, v200
	v_fmac_f32_e32 v200, 0x3f763a35, v100
	v_mov_b32_e32 v203, v202
	v_fmac_f32_e32 v201, 0xbf763a35, v100
	v_add_f32_e32 v200, v200, v204
	v_fmac_f32_e32 v203, 0x3ee437d1, v110
	v_mul_f32_e32 v204, 0x3ee437d1, v111
	v_mul_f32_e32 v111, 0x3f6eb680, v111
	v_add_f32_e32 v201, v201, v205
	v_add_f32_e32 v203, v203, v207
	v_mov_b32_e32 v205, v204
	v_fma_f32 v202, v110, s4, -v202
	v_mul_f32_e32 v101, 0x3eb8f4ab, v101
	v_mov_b32_e32 v207, v111
	v_fmac_f32_e32 v111, 0x3eb8f4ab, v100
	v_fmac_f32_e32 v205, 0xbf65296c, v100
	v_add_f32_e32 v202, v202, v206
	v_fmac_f32_e32 v204, 0x3f65296c, v100
	v_mov_b32_e32 v206, v101
	v_fmac_f32_e32 v207, 0xbeb8f4ab, v100
	v_fma_f32 v101, v110, s2, -v101
	v_add_f32_e32 v100, v111, v109
	v_add_f32_e32 v109, v105, v103
	v_sub_f32_e32 v103, v103, v105
	v_add_f32_e32 v101, v101, v108
	v_add_f32_e32 v108, v104, v102
	v_sub_f32_e32 v102, v102, v104
	v_mul_f32_e32 v104, 0xbf65296c, v103
	v_mov_b32_e32 v105, v104
	v_fmac_f32_e32 v105, 0x3ee437d1, v108
	v_add_f32_e32 v105, v105, v107
	v_mul_f32_e32 v107, 0x3ee437d1, v109
	v_fmac_f32_e32 v206, 0x3f6eb680, v110
	v_mov_b32_e32 v110, v107
	v_fma_f32 v104, v108, s4, -v104
	v_fmac_f32_e32 v107, 0xbf65296c, v102
	v_add_f32_e32 v104, v104, v106
	v_add_f32_e32 v106, v107, v114
	v_mul_f32_e32 v107, 0xbf4c4adb, v103
	v_mov_b32_e32 v111, v107
	v_fma_f32 v107, v108, s13, -v107
	v_fmac_f32_e32 v110, 0x3f65296c, v102
	v_fmac_f32_e32 v111, 0xbf1a4643, v108
	v_mul_f32_e32 v114, 0xbf1a4643, v109
	v_add_f32_e32 v107, v107, v116
	v_mul_f32_e32 v116, 0x3e3c28d5, v103
	v_add_f32_e32 v110, v110, v115
	v_add_f32_e32 v111, v111, v117
	v_mov_b32_e32 v115, v114
	v_fmac_f32_e32 v114, 0xbf4c4adb, v102
	v_mov_b32_e32 v117, v116
	v_fma_f32 v116, v108, s15, -v116
	v_fmac_f32_e32 v115, 0x3f4c4adb, v102
	v_add_f32_e32 v114, v114, v118
	v_fmac_f32_e32 v117, 0xbf7ba420, v108
	v_mul_f32_e32 v118, 0xbf7ba420, v109
	v_add_f32_e32 v116, v116, v175
	v_mul_f32_e32 v175, 0x3f763a35, v103
	v_add_f32_e32 v115, v115, v119
	v_add_f32_e32 v117, v117, v176
	v_mov_b32_e32 v119, v118
	v_fmac_f32_e32 v118, 0x3e3c28d5, v102
	v_mov_b32_e32 v176, v175
	v_fma_f32 v175, v108, s12, -v175
	v_fmac_f32_e32 v119, 0xbe3c28d5, v102
	v_add_f32_e32 v118, v118, v178
	;; [unrolled: 12-line block ×4, first 2 shown]
	v_fmac_f32_e32 v195, 0x3f6eb680, v108
	v_mul_f32_e32 v196, 0x3f6eb680, v109
	v_add_f32_e32 v194, v194, v198
	v_mul_f32_e32 v198, 0xbf7ee86f, v103
	v_add_f32_e32 v184, v184, v197
	v_add_f32_e32 v195, v195, v199
	v_mov_b32_e32 v197, v196
	v_fmac_f32_e32 v196, 0xbeb8f4ab, v102
	v_mov_b32_e32 v199, v198
	v_fma_f32 v198, v108, s5, -v198
	v_mul_f32_e32 v103, 0xbf06c442, v103
	v_fmac_f32_e32 v197, 0x3eb8f4ab, v102
	v_add_f32_e32 v196, v196, v200
	v_fmac_f32_e32 v199, 0x3dbcf732, v108
	v_mul_f32_e32 v200, 0x3dbcf732, v109
	v_add_f32_e32 v198, v198, v202
	v_mov_b32_e32 v202, v103
	v_mul_f32_e32 v109, 0xbf59a7d5, v109
	v_fma_f32 v103, v108, s14, -v103
	v_add_f32_e32 v197, v197, v201
	v_add_f32_e32 v199, v199, v203
	v_mov_b32_e32 v201, v200
	v_mov_b32_e32 v203, v109
	v_add_f32_e32 v101, v103, v101
	v_add_f32_e32 v103, v99, v93
	v_sub_f32_e32 v93, v93, v99
	v_fmac_f32_e32 v201, 0x3f7ee86f, v102
	v_fmac_f32_e32 v200, 0xbf7ee86f, v102
	;; [unrolled: 1-line block ×4, first 2 shown]
	v_add_f32_e32 v102, v98, v92
	v_sub_f32_e32 v92, v92, v98
	v_mul_f32_e32 v98, 0xbf7ee86f, v93
	v_mov_b32_e32 v99, v98
	v_fmac_f32_e32 v99, 0x3dbcf732, v102
	v_add_f32_e32 v99, v99, v105
	v_mul_f32_e32 v105, 0x3dbcf732, v103
	v_fmac_f32_e32 v202, 0xbf59a7d5, v108
	v_mov_b32_e32 v108, v105
	v_fma_f32 v98, v102, s5, -v98
	v_fmac_f32_e32 v105, 0xbf7ee86f, v92
	v_add_f32_e32 v100, v109, v100
	v_fmac_f32_e32 v108, 0x3f7ee86f, v92
	v_add_f32_e32 v98, v98, v104
	v_add_f32_e32 v104, v105, v106
	v_mul_f32_e32 v105, 0xbe3c28d5, v93
	v_mul_f32_e32 v109, 0xbf7ba420, v103
	v_add_f32_e32 v108, v108, v110
	v_mov_b32_e32 v106, v105
	v_mov_b32_e32 v110, v109
	v_fma_f32 v105, v102, s15, -v105
	v_fmac_f32_e32 v109, 0xbe3c28d5, v92
	v_fmac_f32_e32 v106, 0xbf7ba420, v102
	v_add_f32_e32 v105, v105, v107
	v_add_f32_e32 v107, v109, v114
	v_mul_f32_e32 v109, 0x3f763a35, v93
	v_add_f32_e32 v106, v106, v111
	v_mov_b32_e32 v111, v109
	v_fma_f32 v109, v102, s12, -v109
	v_fmac_f32_e32 v110, 0x3e3c28d5, v92
	v_fmac_f32_e32 v111, 0xbe8c1d8e, v102
	v_mul_f32_e32 v114, 0xbe8c1d8e, v103
	v_add_f32_e32 v109, v109, v116
	v_mul_f32_e32 v116, 0x3eb8f4ab, v93
	v_add_f32_e32 v110, v110, v115
	v_add_f32_e32 v111, v111, v117
	v_mov_b32_e32 v115, v114
	v_fmac_f32_e32 v114, 0x3f763a35, v92
	v_mov_b32_e32 v117, v116
	v_fma_f32 v116, v102, s2, -v116
	v_fmac_f32_e32 v115, 0xbf763a35, v92
	v_add_f32_e32 v114, v114, v118
	v_fmac_f32_e32 v117, 0x3f6eb680, v102
	v_mul_f32_e32 v118, 0x3f6eb680, v103
	v_add_f32_e32 v116, v116, v175
	v_mul_f32_e32 v175, 0xbf65296c, v93
	v_add_f32_e32 v115, v115, v119
	v_add_f32_e32 v117, v117, v176
	v_mov_b32_e32 v119, v118
	v_fmac_f32_e32 v118, 0x3eb8f4ab, v92
	v_mov_b32_e32 v176, v175
	v_fma_f32 v175, v102, s4, -v175
	v_fmac_f32_e32 v119, 0xbeb8f4ab, v92
	v_add_f32_e32 v118, v118, v178
	;; [unrolled: 12-line block ×3, first 2 shown]
	v_fmac_f32_e32 v181, 0xbf59a7d5, v102
	v_mul_f32_e32 v183, 0xbf59a7d5, v103
	v_add_f32_e32 v180, v180, v194
	v_mul_f32_e32 v194, 0x3f4c4adb, v93
	v_add_f32_e32 v179, v179, v184
	v_add_f32_e32 v181, v181, v195
	v_mov_b32_e32 v184, v183
	v_fmac_f32_e32 v183, 0xbf06c442, v92
	v_mov_b32_e32 v195, v194
	v_fma_f32 v194, v102, s13, -v194
	v_mul_f32_e32 v93, 0x3f2c7751, v93
	v_fmac_f32_e32 v184, 0x3f06c442, v92
	v_add_f32_e32 v183, v183, v196
	v_fmac_f32_e32 v195, 0xbf1a4643, v102
	v_mul_f32_e32 v196, 0xbf1a4643, v103
	v_add_f32_e32 v194, v194, v198
	v_mov_b32_e32 v198, v93
	v_mul_f32_e32 v103, 0x3f3d2fb0, v103
	v_fma_f32 v93, v102, s3, -v93
	v_add_f32_e32 v184, v184, v197
	v_add_f32_e32 v195, v195, v199
	v_mov_b32_e32 v197, v196
	v_mov_b32_e32 v199, v103
	v_add_f32_e32 v93, v93, v101
	v_fmac_f32_e32 v103, 0x3f2c7751, v92
	v_add_f32_e32 v101, v97, v95
	v_sub_f32_e32 v95, v95, v97
	v_fmac_f32_e32 v197, 0xbf4c4adb, v92
	v_fmac_f32_e32 v196, 0x3f4c4adb, v92
	;; [unrolled: 1-line block ×3, first 2 shown]
	v_add_f32_e32 v92, v103, v100
	v_add_f32_e32 v100, v96, v94
	v_sub_f32_e32 v94, v94, v96
	v_mul_f32_e32 v96, 0xbf763a35, v95
	v_mov_b32_e32 v97, v96
	v_fmac_f32_e32 v97, 0xbe8c1d8e, v100
	v_add_f32_e32 v97, v97, v99
	v_mul_f32_e32 v99, 0xbe8c1d8e, v101
	v_fmac_f32_e32 v198, 0x3f3d2fb0, v102
	v_mov_b32_e32 v102, v99
	v_fma_f32 v96, v100, s12, -v96
	v_fmac_f32_e32 v99, 0xbf763a35, v94
	v_add_f32_e32 v96, v96, v98
	v_add_f32_e32 v98, v99, v104
	v_mul_f32_e32 v99, 0x3f06c442, v95
	v_mov_b32_e32 v103, v99
	v_fmac_f32_e32 v103, 0xbf59a7d5, v100
	v_mul_f32_e32 v104, 0xbf59a7d5, v101
	v_fma_f32 v99, v100, s14, -v99
	v_add_f32_e32 v103, v103, v106
	v_mov_b32_e32 v106, v104
	v_add_f32_e32 v99, v99, v105
	v_fmac_f32_e32 v104, 0x3f06c442, v94
	v_mul_f32_e32 v105, 0x3f2c7751, v95
	v_fmac_f32_e32 v102, 0x3f763a35, v94
	v_add_f32_e32 v104, v104, v107
	v_mov_b32_e32 v107, v105
	v_fma_f32 v105, v100, s3, -v105
	v_add_f32_e32 v102, v102, v108
	v_fmac_f32_e32 v106, 0xbf06c442, v94
	v_fmac_f32_e32 v107, 0x3f3d2fb0, v100
	v_mul_f32_e32 v108, 0x3f3d2fb0, v101
	v_add_f32_e32 v105, v105, v109
	v_mul_f32_e32 v109, 0xbf65296c, v95
	v_add_f32_e32 v106, v106, v110
	v_add_f32_e32 v107, v107, v111
	v_mov_b32_e32 v110, v108
	v_fmac_f32_e32 v108, 0x3f2c7751, v94
	v_mov_b32_e32 v111, v109
	v_fma_f32 v109, v100, s4, -v109
	v_fmac_f32_e32 v110, 0xbf2c7751, v94
	v_add_f32_e32 v108, v108, v114
	v_fmac_f32_e32 v111, 0x3ee437d1, v100
	v_mul_f32_e32 v114, 0x3ee437d1, v101
	v_add_f32_e32 v109, v109, v116
	v_mul_f32_e32 v116, 0xbe3c28d5, v95
	v_add_f32_e32 v110, v110, v115
	v_add_f32_e32 v111, v111, v117
	v_mov_b32_e32 v115, v114
	v_fmac_f32_e32 v114, 0xbf65296c, v94
	v_mov_b32_e32 v117, v116
	v_fma_f32 v116, v100, s15, -v116
	v_fmac_f32_e32 v115, 0x3f65296c, v94
	v_add_f32_e32 v114, v114, v118
	;; [unrolled: 12-line block ×3, first 2 shown]
	v_fmac_f32_e32 v176, 0x3dbcf732, v100
	v_mul_f32_e32 v178, 0x3dbcf732, v101
	v_add_f32_e32 v175, v175, v180
	v_mul_f32_e32 v180, 0xbeb8f4ab, v95
	v_add_f32_e32 v119, v119, v179
	v_add_f32_e32 v176, v176, v181
	v_mov_b32_e32 v179, v178
	v_fmac_f32_e32 v178, 0x3f7ee86f, v94
	v_mov_b32_e32 v181, v180
	v_fma_f32 v180, v100, s2, -v180
	v_mul_f32_e32 v95, 0xbf4c4adb, v95
	v_fmac_f32_e32 v179, 0xbf7ee86f, v94
	v_add_f32_e32 v178, v178, v183
	v_fmac_f32_e32 v181, 0x3f6eb680, v100
	v_mul_f32_e32 v183, 0x3f6eb680, v101
	v_add_f32_e32 v180, v180, v194
	v_mov_b32_e32 v194, v95
	v_mul_f32_e32 v101, 0xbf1a4643, v101
	v_fma_f32 v95, v100, s13, -v95
	v_add_f32_e32 v179, v179, v184
	v_add_f32_e32 v181, v181, v195
	v_mov_b32_e32 v184, v183
	v_mov_b32_e32 v195, v101
	v_add_f32_e32 v93, v95, v93
	v_add_f32_e32 v95, v91, v85
	v_sub_f32_e32 v85, v85, v91
	v_fmac_f32_e32 v184, 0x3eb8f4ab, v94
	v_fmac_f32_e32 v183, 0xbeb8f4ab, v94
	;; [unrolled: 1-line block ×4, first 2 shown]
	v_add_f32_e32 v94, v90, v84
	v_sub_f32_e32 v84, v84, v90
	v_mul_f32_e32 v90, 0xbf4c4adb, v85
	v_mov_b32_e32 v91, v90
	v_fmac_f32_e32 v91, 0xbf1a4643, v94
	v_add_f32_e32 v91, v91, v97
	v_mul_f32_e32 v97, 0xbf1a4643, v95
	v_fmac_f32_e32 v194, 0xbf1a4643, v100
	v_mov_b32_e32 v100, v97
	v_fma_f32 v90, v94, s13, -v90
	v_fmac_f32_e32 v97, 0xbf4c4adb, v84
	v_add_f32_e32 v92, v101, v92
	v_fmac_f32_e32 v100, 0x3f4c4adb, v84
	v_add_f32_e32 v90, v90, v96
	v_add_f32_e32 v96, v97, v98
	v_mul_f32_e32 v97, 0x3f763a35, v85
	v_mul_f32_e32 v101, 0xbe8c1d8e, v95
	v_add_f32_e32 v100, v100, v102
	v_mov_b32_e32 v98, v97
	v_mov_b32_e32 v102, v101
	v_fma_f32 v97, v94, s12, -v97
	v_fmac_f32_e32 v101, 0x3f763a35, v84
	v_fmac_f32_e32 v98, 0xbe8c1d8e, v94
	v_add_f32_e32 v97, v97, v99
	v_add_f32_e32 v99, v101, v104
	v_mul_f32_e32 v101, 0xbeb8f4ab, v85
	v_add_f32_e32 v98, v98, v103
	v_mov_b32_e32 v103, v101
	v_fma_f32 v101, v94, s2, -v101
	v_fmac_f32_e32 v102, 0xbf763a35, v84
	v_fmac_f32_e32 v103, 0x3f6eb680, v94
	v_mul_f32_e32 v104, 0x3f6eb680, v95
	v_add_f32_e32 v101, v101, v105
	v_mul_f32_e32 v105, 0xbf06c442, v85
	v_add_f32_e32 v102, v102, v106
	v_add_f32_e32 v103, v103, v107
	v_mov_b32_e32 v106, v104
	v_fmac_f32_e32 v104, 0xbeb8f4ab, v84
	v_mov_b32_e32 v107, v105
	v_fma_f32 v105, v94, s14, -v105
	v_fmac_f32_e32 v106, 0x3eb8f4ab, v84
	v_add_f32_e32 v104, v104, v108
	v_fmac_f32_e32 v107, 0xbf59a7d5, v94
	v_mul_f32_e32 v108, 0xbf59a7d5, v95
	v_add_f32_e32 v105, v105, v109
	v_mul_f32_e32 v109, 0x3f7ee86f, v85
	v_add_f32_e32 v106, v106, v110
	v_add_f32_e32 v107, v107, v111
	v_mov_b32_e32 v110, v108
	v_fmac_f32_e32 v108, 0xbf06c442, v84
	v_mov_b32_e32 v111, v109
	v_fma_f32 v109, v94, s5, -v109
	v_fmac_f32_e32 v110, 0x3f06c442, v84
	v_add_f32_e32 v108, v108, v114
	;; [unrolled: 12-line block ×3, first 2 shown]
	v_fmac_f32_e32 v117, 0x3f3d2fb0, v94
	v_mul_f32_e32 v118, 0x3f3d2fb0, v95
	v_add_f32_e32 v116, v116, v175
	v_mul_f32_e32 v175, 0xbe3c28d5, v85
	v_add_f32_e32 v115, v115, v119
	v_add_f32_e32 v117, v117, v176
	v_mov_b32_e32 v119, v118
	v_fmac_f32_e32 v118, 0xbf2c7751, v84
	v_mov_b32_e32 v176, v175
	v_fma_f32 v175, v94, s15, -v175
	v_mul_f32_e32 v85, 0x3f65296c, v85
	v_fmac_f32_e32 v119, 0x3f2c7751, v84
	v_add_f32_e32 v118, v118, v178
	v_fmac_f32_e32 v176, 0xbf7ba420, v94
	v_mul_f32_e32 v178, 0xbf7ba420, v95
	v_add_f32_e32 v175, v175, v180
	v_mov_b32_e32 v180, v85
	v_mul_f32_e32 v95, 0x3ee437d1, v95
	v_fma_f32 v85, v94, s4, -v85
	v_add_f32_e32 v119, v119, v179
	v_add_f32_e32 v176, v176, v181
	v_mov_b32_e32 v179, v178
	v_mov_b32_e32 v181, v95
	v_add_f32_e32 v85, v85, v93
	v_fmac_f32_e32 v95, 0x3f65296c, v84
	v_add_f32_e32 v93, v89, v87
	v_sub_f32_e32 v87, v87, v89
	v_fmac_f32_e32 v179, 0x3e3c28d5, v84
	v_fmac_f32_e32 v178, 0xbe3c28d5, v84
	v_fmac_f32_e32 v181, 0xbf65296c, v84
	v_add_f32_e32 v84, v95, v92
	v_add_f32_e32 v92, v88, v86
	v_sub_f32_e32 v86, v86, v88
	v_mul_f32_e32 v88, 0xbf06c442, v87
	v_mov_b32_e32 v89, v88
	v_fmac_f32_e32 v89, 0xbf59a7d5, v92
	v_add_f32_e32 v89, v89, v91
	v_mul_f32_e32 v91, 0xbf59a7d5, v93
	v_fmac_f32_e32 v180, 0x3ee437d1, v94
	v_mov_b32_e32 v94, v91
	v_fma_f32 v88, v92, s14, -v88
	v_fmac_f32_e32 v91, 0xbf06c442, v86
	v_add_f32_e32 v88, v88, v90
	v_add_f32_e32 v90, v91, v96
	v_mul_f32_e32 v91, 0x3f65296c, v87
	v_mov_b32_e32 v95, v91
	v_fmac_f32_e32 v95, 0x3ee437d1, v92
	v_mul_f32_e32 v96, 0x3ee437d1, v93
	v_fma_f32 v91, v92, s4, -v91
	v_add_f32_e32 v95, v95, v98
	v_mov_b32_e32 v98, v96
	v_add_f32_e32 v91, v91, v97
	v_fmac_f32_e32 v96, 0x3f65296c, v86
	v_mul_f32_e32 v97, 0xbf7ee86f, v87
	v_fmac_f32_e32 v94, 0x3f06c442, v86
	v_add_f32_e32 v96, v96, v99
	v_mov_b32_e32 v99, v97
	v_fma_f32 v97, v92, s5, -v97
	v_add_f32_e32 v94, v94, v100
	v_fmac_f32_e32 v98, 0xbf65296c, v86
	v_fmac_f32_e32 v99, 0x3dbcf732, v92
	v_mul_f32_e32 v100, 0x3dbcf732, v93
	v_add_f32_e32 v97, v97, v101
	v_mul_f32_e32 v101, 0x3f4c4adb, v87
	v_add_f32_e32 v98, v98, v102
	v_add_f32_e32 v99, v99, v103
	v_mov_b32_e32 v102, v100
	v_fmac_f32_e32 v100, 0xbf7ee86f, v86
	v_mov_b32_e32 v103, v101
	v_fma_f32 v101, v92, s13, -v101
	v_fmac_f32_e32 v102, 0x3f7ee86f, v86
	v_add_f32_e32 v100, v100, v104
	v_fmac_f32_e32 v103, 0xbf1a4643, v92
	v_mul_f32_e32 v104, 0xbf1a4643, v93
	v_add_f32_e32 v101, v101, v105
	v_mul_f32_e32 v105, 0xbeb8f4ab, v87
	v_add_f32_e32 v102, v102, v106
	v_add_f32_e32 v103, v103, v107
	v_mov_b32_e32 v106, v104
	v_fmac_f32_e32 v104, 0x3f4c4adb, v86
	v_mov_b32_e32 v107, v105
	v_fma_f32 v105, v92, s2, -v105
	v_fmac_f32_e32 v106, 0xbf4c4adb, v86
	v_add_f32_e32 v104, v104, v108
	v_fmac_f32_e32 v107, 0x3f6eb680, v92
	v_mul_f32_e32 v108, 0x3f6eb680, v93
	v_add_f32_e32 v105, v105, v109
	v_mul_f32_e32 v109, 0xbe3c28d5, v87
	v_add_f32_e32 v106, v106, v110
	v_add_f32_e32 v107, v107, v111
	v_mov_b32_e32 v110, v108
	v_fmac_f32_e32 v108, 0xbeb8f4ab, v86
	v_mov_b32_e32 v111, v109
	v_fma_f32 v109, v92, s15, -v109
	v_add_f32_e32 v207, v207, v211
	v_fmac_f32_e32 v110, 0x3eb8f4ab, v86
	v_add_f32_e32 v108, v108, v114
	v_fmac_f32_e32 v111, 0xbf7ba420, v92
	v_mul_f32_e32 v114, 0xbf7ba420, v93
	v_add_f32_e32 v109, v109, v116
	v_mul_f32_e32 v116, 0x3f2c7751, v87
	v_add_f32_e32 v205, v205, v209
	v_add_f32_e32 v206, v206, v210
	;; [unrolled: 1-line block ×5, first 2 shown]
	v_mov_b32_e32 v115, v114
	v_fmac_f32_e32 v114, 0xbe3c28d5, v86
	v_mov_b32_e32 v117, v116
	v_add_f32_e32 v204, v204, v208
	v_add_f32_e32 v201, v201, v205
	;; [unrolled: 1-line block ×5, first 2 shown]
	v_fmac_f32_e32 v117, 0x3f3d2fb0, v92
	v_mul_f32_e32 v118, 0x3f3d2fb0, v93
	v_mul_f32_e32 v93, 0xbe8c1d8e, v93
	v_add_f32_e32 v200, v200, v204
	v_add_f32_e32 v197, v197, v201
	;; [unrolled: 1-line block ×5, first 2 shown]
	v_fma_f32 v116, v92, s3, -v116
	v_mul_f32_e32 v87, 0xbf763a35, v87
	v_mov_b32_e32 v176, v93
	v_add_f32_e32 v196, v196, v200
	v_add_f32_e32 v184, v184, v197
	;; [unrolled: 1-line block ×4, first 2 shown]
	v_fmac_f32_e32 v115, 0x3e3c28d5, v86
	v_add_f32_e32 v116, v116, v175
	v_mov_b32_e32 v175, v87
	v_fmac_f32_e32 v176, 0x3f763a35, v86
	v_add_f32_e32 v183, v183, v196
	v_add_f32_e32 v179, v179, v184
	;; [unrolled: 1-line block ×4, first 2 shown]
	v_mov_b32_e32 v119, v118
	v_fmac_f32_e32 v175, 0xbe8c1d8e, v92
	v_add_f32_e32 v176, v176, v181
	v_add_f32_e32 v181, v83, v81
	v_sub_f32_e32 v184, v81, v83
	v_add_f32_e32 v178, v178, v183
	v_fmac_f32_e32 v119, 0xbf2c7751, v86
	v_fmac_f32_e32 v118, 0x3f2c7751, v86
	v_add_f32_e32 v175, v175, v180
	v_fmac_f32_e32 v93, 0xbf763a35, v86
	v_add_f32_e32 v180, v82, v80
	v_sub_f32_e32 v183, v80, v82
	v_mul_f32_e32 v82, 0xbe3c28d5, v184
	v_mul_f32_e32 v83, 0xbf7ba420, v181
	;; [unrolled: 1-line block ×3, first 2 shown]
	v_add_f32_e32 v119, v119, v179
	v_fma_f32 v87, v92, s12, -v87
	v_add_f32_e32 v179, v93, v84
	v_mov_b32_e32 v80, v82
	v_mov_b32_e32 v81, v83
	v_fmac_f32_e32 v83, 0xbe3c28d5, v183
	v_mov_b32_e32 v84, v86
	v_fma_f32 v86, v180, s2, -v86
	v_add_f32_e32 v118, v118, v178
	v_add_f32_e32 v178, v87, v85
	v_fmac_f32_e32 v80, 0xbf7ba420, v180
	v_fma_f32 v82, v180, s15, -v82
	v_add_f32_e32 v83, v83, v90
	v_mul_f32_e32 v87, 0x3f6eb680, v181
	v_add_f32_e32 v86, v86, v91
	v_mul_f32_e32 v90, 0xbf06c442, v184
	v_mul_f32_e32 v91, 0xbf59a7d5, v181
	v_add_f32_e32 v80, v80, v89
	v_add_f32_e32 v82, v82, v88
	v_mov_b32_e32 v85, v87
	v_mov_b32_e32 v88, v90
	;; [unrolled: 1-line block ×3, first 2 shown]
	v_fmac_f32_e32 v81, 0x3e3c28d5, v183
	v_fmac_f32_e32 v84, 0x3f6eb680, v180
	;; [unrolled: 1-line block ×5, first 2 shown]
	v_add_f32_e32 v81, v81, v94
	v_add_f32_e32 v84, v84, v95
	;; [unrolled: 1-line block ×3, first 2 shown]
	v_fmac_f32_e32 v87, 0x3eb8f4ab, v183
	v_add_f32_e32 v88, v88, v99
	v_add_f32_e32 v89, v89, v102
	v_fma_f32 v90, v180, s14, -v90
	v_fmac_f32_e32 v91, 0xbf06c442, v183
	v_mul_f32_e32 v94, 0x3f2c7751, v184
	v_mul_f32_e32 v95, 0x3f3d2fb0, v181
	;; [unrolled: 1-line block ×5, first 2 shown]
	v_add_f32_e32 v87, v87, v96
	v_add_f32_e32 v90, v90, v97
	v_add_f32_e32 v91, v91, v100
	v_mov_b32_e32 v92, v94
	v_mov_b32_e32 v93, v95
	v_mov_b32_e32 v96, v98
	v_mov_b32_e32 v97, v99
	v_mov_b32_e32 v100, v102
	v_fmac_f32_e32 v92, 0x3f3d2fb0, v180
	v_fmac_f32_e32 v93, 0xbf2c7751, v183
	;; [unrolled: 1-line block ×5, first 2 shown]
	v_add_f32_e32 v92, v92, v103
	v_add_f32_e32 v93, v93, v106
	v_fma_f32 v94, v180, s3, -v94
	v_fmac_f32_e32 v95, 0x3f2c7751, v183
	v_add_f32_e32 v96, v96, v107
	v_add_f32_e32 v97, v97, v110
	v_fma_f32 v98, v180, s13, -v98
	v_fmac_f32_e32 v99, 0xbf4c4adb, v183
	v_add_f32_e32 v100, v100, v111
	v_mul_f32_e32 v103, 0x3ee437d1, v181
	v_fma_f32 v102, v180, s4, -v102
	v_mul_f32_e32 v106, 0xbf763a35, v184
	v_mul_f32_e32 v107, 0xbe8c1d8e, v181
	;; [unrolled: 1-line block ×4, first 2 shown]
	v_add_f32_e32 v94, v94, v101
	v_add_f32_e32 v95, v95, v104
	;; [unrolled: 1-line block ×4, first 2 shown]
	v_mov_b32_e32 v101, v103
	v_add_f32_e32 v102, v102, v109
	v_mov_b32_e32 v104, v106
	v_mov_b32_e32 v105, v107
	v_mov_b32_e32 v108, v110
	v_mov_b32_e32 v109, v111
	v_fmac_f32_e32 v101, 0xbf65296c, v183
	v_fmac_f32_e32 v103, 0x3f65296c, v183
	;; [unrolled: 1-line block ×4, first 2 shown]
	v_fma_f32 v106, v180, s12, -v106
	v_fmac_f32_e32 v107, 0xbf763a35, v183
	v_fmac_f32_e32 v108, 0x3dbcf732, v180
	;; [unrolled: 1-line block ×3, first 2 shown]
	v_fma_f32 v110, v180, s5, -v110
	v_fmac_f32_e32 v111, 0x3f7ee86f, v183
	v_add_f32_e32 v101, v101, v115
	v_add_f32_e32 v103, v103, v114
	;; [unrolled: 1-line block ×10, first 2 shown]
	s_waitcnt lgkmcnt(0)
	; wave barrier
	ds_write2_b64 v185, v[173:174], v[80:81] offset1:1
	ds_write2_b64 v185, v[84:85], v[88:89] offset0:2 offset1:3
	ds_write2_b64 v185, v[92:93], v[96:97] offset0:4 offset1:5
	;; [unrolled: 1-line block ×7, first 2 shown]
	ds_write_b64 v185, v[82:83] offset:128
	s_and_saveexec_b64 s[0:1], vcc
	s_cbranch_execz .LBB0_13
; %bb.12:
	v_add_f32_e32 v114, v3, v73
	v_mul_f32_e32 v108, 0xbf7ba420, v114
	v_add_f32_e32 v115, v1, v75
	v_sub_f32_e32 v92, v72, v2
	v_mov_b32_e32 v80, v108
	v_mul_f32_e32 v109, 0x3f6eb680, v115
	v_fmac_f32_e32 v80, 0x3e3c28d5, v92
	v_sub_f32_e32 v93, v74, v0
	v_mov_b32_e32 v81, v109
	v_add_f32_e32 v116, v150, v69
	v_add_f32_e32 v80, v172, v80
	v_fmac_f32_e32 v81, 0xbeb8f4ab, v93
	v_mul_f32_e32 v110, 0xbf59a7d5, v116
	v_add_f32_e32 v80, v81, v80
	v_sub_f32_e32 v94, v68, v149
	v_mov_b32_e32 v81, v110
	v_add_f32_e32 v117, v136, v71
	v_fmac_f32_e32 v81, 0x3f06c442, v94
	v_mul_f32_e32 v111, 0x3f3d2fb0, v117
	v_add_f32_e32 v80, v81, v80
	v_sub_f32_e32 v95, v70, v135
	v_mov_b32_e32 v81, v111
	;; [unrolled: 6-line block ×6, first 2 shown]
	v_sub_f32_e32 v180, v73, v3
	v_fmac_f32_e32 v81, 0xbf7ee86f, v99
	v_mul_f32_e32 v250, 0xbe3c28d5, v180
	v_sub_f32_e32 v181, v75, v1
	v_add_f32_e32 v124, v81, v80
	v_add_f32_e32 v100, v2, v72
	v_mov_b32_e32 v80, v250
	v_mul_f32_e32 v251, 0x3eb8f4ab, v181
	v_fmac_f32_e32 v80, 0xbf7ba420, v100
	v_add_f32_e32 v101, v0, v74
	v_mov_b32_e32 v82, v251
	v_add_f32_e32 v80, v171, v80
	v_fmac_f32_e32 v82, 0x3f6eb680, v101
	v_sub_f32_e32 v183, v69, v150
	v_add_f32_e32 v80, v82, v80
	v_add_f32_e32 v102, v149, v68
	v_mul_f32_e32 v82, 0xbf06c442, v183
	buffer_store_dword v82, off, s[20:23], 0 offset:168 ; 4-byte Folded Spill
	v_fmac_f32_e32 v82, 0xbf59a7d5, v102
	v_sub_f32_e32 v184, v71, v136
	v_add_f32_e32 v80, v82, v80
	v_add_f32_e32 v103, v135, v70
	v_mul_f32_e32 v82, 0x3f2c7751, v184
	buffer_store_dword v82, off, s[20:23], 0 offset:172 ; 4-byte Folded Spill
	;; [unrolled: 6-line block ×6, first 2 shown]
	v_fmac_f32_e32 v82, 0x3dbcf732, v107
	v_mul_f32_e32 v201, 0xbf59a7d5, v114
	v_add_f32_e32 v123, v82, v80
	v_mov_b32_e32 v82, v201
	v_mul_f32_e32 v202, 0x3ee437d1, v115
	v_fmac_f32_e32 v82, 0x3f06c442, v92
	v_mov_b32_e32 v83, v202
	v_add_f32_e32 v82, v172, v82
	v_fmac_f32_e32 v83, 0xbf65296c, v93
	v_mul_f32_e32 v203, 0x3dbcf732, v116
	v_add_f32_e32 v82, v83, v82
	v_mov_b32_e32 v83, v203
	v_fmac_f32_e32 v83, 0x3f7ee86f, v94
	v_mul_f32_e32 v204, 0xbf1a4643, v117
	v_add_f32_e32 v82, v83, v82
	v_mov_b32_e32 v83, v204
	;; [unrolled: 4-line block ×6, first 2 shown]
	v_fmac_f32_e32 v83, 0x3f763a35, v99
	v_add_f32_e32 v195, v83, v82
	v_mul_f32_e32 v82, 0xbf06c442, v180
	buffer_store_dword v82, off, s[20:23], 0 offset:192 ; 4-byte Folded Spill
	v_fmac_f32_e32 v82, 0xbf59a7d5, v100
	v_mul_f32_e32 v84, 0x3f65296c, v181
	v_add_f32_e32 v82, v171, v82
	buffer_store_dword v84, off, s[20:23], 0 offset:196 ; 4-byte Folded Spill
	v_fmac_f32_e32 v84, 0x3ee437d1, v101
	v_add_f32_e32 v82, v84, v82
	v_mul_f32_e32 v84, 0xbf7ee86f, v183
	buffer_store_dword v84, off, s[20:23], 0 offset:200 ; 4-byte Folded Spill
	v_fmac_f32_e32 v84, 0x3dbcf732, v102
	v_add_f32_e32 v82, v84, v82
	v_mul_f32_e32 v84, 0x3f4c4adb, v184
	;; [unrolled: 4-line block ×6, first 2 shown]
	buffer_store_dword v84, off, s[20:23], 0 offset:220 ; 4-byte Folded Spill
	v_fmac_f32_e32 v84, 0xbe8c1d8e, v107
	v_mul_f32_e32 v224, 0xbf1a4643, v114
	v_add_f32_e32 v194, v84, v82
	v_mov_b32_e32 v84, v224
	v_mul_f32_e32 v225, 0xbe8c1d8e, v115
	v_fmac_f32_e32 v84, 0x3f4c4adb, v92
	v_mov_b32_e32 v85, v225
	v_add_f32_e32 v84, v172, v84
	v_fmac_f32_e32 v85, 0xbf763a35, v93
	v_mul_f32_e32 v226, 0x3f6eb680, v116
	v_add_f32_e32 v84, v85, v84
	v_mov_b32_e32 v85, v226
	v_fmac_f32_e32 v85, 0x3eb8f4ab, v94
	v_mul_f32_e32 v227, 0xbf59a7d5, v117
	v_add_f32_e32 v84, v85, v84
	v_mov_b32_e32 v85, v227
	;; [unrolled: 4-line block ×6, first 2 shown]
	v_add_f32_e32 v73, v73, v172
	v_fmac_f32_e32 v85, 0xbf65296c, v99
	v_add_f32_e32 v73, v75, v73
	v_add_f32_e32 v233, v85, v84
	v_mul_f32_e32 v84, 0xbf4c4adb, v180
	v_add_f32_e32 v69, v69, v73
	buffer_store_dword v84, off, s[20:23], 0 offset:224 ; 4-byte Folded Spill
	v_fmac_f32_e32 v84, 0xbf1a4643, v100
	v_mul_f32_e32 v86, 0x3f763a35, v181
	v_add_f32_e32 v69, v71, v69
	v_add_f32_e32 v84, v171, v84
	buffer_store_dword v86, off, s[20:23], 0 offset:228 ; 4-byte Folded Spill
	v_fmac_f32_e32 v86, 0xbe8c1d8e, v101
	v_add_f32_e32 v69, v77, v69
	v_add_f32_e32 v84, v86, v84
	v_mul_f32_e32 v86, 0xbeb8f4ab, v183
	v_add_f32_e32 v69, v79, v69
	buffer_store_dword v86, off, s[20:23], 0 offset:232 ; 4-byte Folded Spill
	v_fmac_f32_e32 v86, 0x3f6eb680, v102
	v_add_f32_e32 v69, v158, v69
	v_add_f32_e32 v84, v86, v84
	v_mul_f32_e32 v86, 0xbf06c442, v184
	;; [unrolled: 6-line block ×6, first 2 shown]
	v_add_f32_e32 v1, v3, v1
	v_add_f32_e32 v3, v72, v171
	buffer_store_dword v86, off, s[20:23], 0 offset:252 ; 4-byte Folded Spill
	v_fmac_f32_e32 v86, 0x3ee437d1, v107
	v_mul_f32_e32 v240, 0xbe8c1d8e, v114
	v_add_f32_e32 v3, v74, v3
	v_add_f32_e32 v232, v86, v84
	v_mov_b32_e32 v86, v240
	v_mul_f32_e32 v241, 0xbf59a7d5, v115
	v_add_f32_e32 v3, v68, v3
	v_fmac_f32_e32 v86, 0x3f763a35, v92
	v_mov_b32_e32 v87, v241
	v_add_f32_e32 v3, v70, v3
	v_add_f32_e32 v86, v172, v86
	v_fmac_f32_e32 v87, 0xbf06c442, v93
	v_mul_f32_e32 v242, 0x3f3d2fb0, v116
	v_add_f32_e32 v3, v76, v3
	v_add_f32_e32 v86, v87, v86
	v_mov_b32_e32 v87, v242
	v_add_f32_e32 v3, v78, v3
	v_fmac_f32_e32 v87, 0xbf2c7751, v94
	v_mul_f32_e32 v243, 0x3ee437d1, v117
	v_add_f32_e32 v3, v157, v3
	v_add_f32_e32 v86, v87, v86
	v_mov_b32_e32 v87, v243
	;; [unrolled: 6-line block ×5, first 2 shown]
	v_add_f32_e32 v3, v149, v3
	v_fmac_f32_e32 v87, 0x3eb8f4ab, v98
	v_mul_f32_e32 v247, 0xbf1a4643, v179
	v_add_f32_e32 v0, v0, v3
	v_fmac_f32_e32 v108, 0xbe3c28d5, v92
	v_add_f32_e32 v86, v87, v86
	v_mov_b32_e32 v87, v247
	v_add_f32_e32 v0, v2, v0
	v_add_f32_e32 v2, v172, v108
	v_fmac_f32_e32 v109, 0x3eb8f4ab, v93
	v_fmac_f32_e32 v87, 0x3f4c4adb, v99
	buffer_store_dword v156, off, s[20:23], 0 offset:160 ; 4-byte Folded Spill
	v_mul_f32_e32 v156, 0xbf763a35, v180
	v_add_f32_e32 v2, v109, v2
	v_fmac_f32_e32 v110, 0xbf06c442, v94
	v_add_f32_e32 v235, v87, v86
	v_mov_b32_e32 v86, v156
	buffer_store_dword v153, off, s[20:23], 0 offset:136 ; 4-byte Folded Spill
	v_mul_f32_e32 v153, 0x3f06c442, v181
	v_add_f32_e32 v2, v110, v2
	v_fmac_f32_e32 v111, 0x3f2c7751, v95
	v_fmac_f32_e32 v86, 0xbe8c1d8e, v100
	v_mov_b32_e32 v88, v153
	v_add_f32_e32 v2, v111, v2
	v_fmac_f32_e32 v173, 0xbf4c4adb, v96
	v_add_f32_e32 v86, v171, v86
	v_fmac_f32_e32 v88, 0xbf59a7d5, v101
	;; [unrolled: 2-line block ×3, first 2 shown]
	v_add_f32_e32 v86, v88, v86
	v_mul_f32_e32 v88, 0x3f2c7751, v183
	v_add_f32_e32 v2, v174, v2
	v_fmac_f32_e32 v175, 0xbf763a35, v98
	buffer_store_dword v88, off, s[20:23], 0 offset:256 ; 4-byte Folded Spill
	v_fmac_f32_e32 v88, 0x3f3d2fb0, v102
	v_add_f32_e32 v2, v175, v2
	v_fmac_f32_e32 v176, 0x3f7ee86f, v99
	v_add_f32_e32 v86, v88, v86
	v_mul_f32_e32 v88, 0xbf65296c, v184
	v_add_f32_e32 v3, v176, v2
	v_fma_f32 v2, v100, s15, -v250
	buffer_store_dword v88, off, s[20:23], 0 offset:260 ; 4-byte Folded Spill
	buffer_store_dword v186, off, s[20:23], 0 offset:148 ; 4-byte Folded Spill
	;; [unrolled: 1-line block ×6, first 2 shown]
	v_add_f32_e32 v2, v171, v2
	v_fma_f32 v68, v101, s2, -v251
	v_add_f32_e32 v2, v68, v2
	buffer_load_dword v68, off, s[20:23], 0 offset:168 ; 4-byte Folded Reload
	buffer_load_dword v70, off, s[20:23], 0 offset:196 ; 4-byte Folded Reload
	;; [unrolled: 1-line block ×3, first 2 shown]
	v_fmac_f32_e32 v201, 0xbf06c442, v92
	v_fmac_f32_e32 v202, 0x3f65296c, v93
	;; [unrolled: 1-line block ×24, first 2 shown]
	v_fma_f32 v74, v101, s14, -v153
	v_fmac_f32_e32 v88, 0x3ee437d1, v103
	v_mul_f32_e32 v252, 0xbe3c28d5, v211
	v_add_f32_e32 v86, v88, v86
	v_mov_b32_e32 v88, v252
	v_fmac_f32_e32 v88, 0xbf7ba420, v104
	v_mul_f32_e32 v253, 0x3f7ee86f, v213
	v_add_f32_e32 v86, v88, v86
	v_mov_b32_e32 v88, v253
	;; [unrolled: 4-line block ×5, first 2 shown]
	v_mul_f32_e32 v187, 0xbf7ba420, v115
	v_fmac_f32_e32 v88, 0x3f7ee86f, v92
	v_mov_b32_e32 v89, v187
	v_add_f32_e32 v88, v172, v88
	v_fmac_f32_e32 v89, 0x3e3c28d5, v93
	v_mul_f32_e32 v188, 0xbe8c1d8e, v116
	v_add_f32_e32 v88, v89, v88
	v_mov_b32_e32 v89, v188
	v_fmac_f32_e32 v89, 0xbf763a35, v94
	v_mul_f32_e32 v189, 0x3f6eb680, v117
	v_add_f32_e32 v88, v89, v88
	v_mov_b32_e32 v89, v189
	;; [unrolled: 4-line block ×6, first 2 shown]
	v_mul_f32_e32 v221, 0xbf7ee86f, v180
	v_fmac_f32_e32 v89, 0xbf2c7751, v99
	v_mov_b32_e32 v81, v221
	v_mul_f32_e32 v220, 0xbe3c28d5, v181
	s_waitcnt vmcnt(2)
	v_fma_f32 v68, v102, s14, -v68
	v_add_f32_e32 v2, v68, v2
	buffer_load_dword v68, off, s[20:23], 0 offset:172 ; 4-byte Folded Reload
	s_waitcnt vmcnt(2)
	v_fma_f32 v70, v101, s4, -v70
	s_waitcnt vmcnt(1)
	v_fma_f32 v72, v101, s12, -v72
	v_add_f32_e32 v223, v89, v88
	v_fmac_f32_e32 v81, 0x3dbcf732, v100
	v_mov_b32_e32 v88, v220
	v_add_f32_e32 v81, v171, v81
	v_fmac_f32_e32 v88, 0xbf7ba420, v101
	v_mul_f32_e32 v218, 0x3f763a35, v183
	v_add_f32_e32 v81, v88, v81
	v_mov_b32_e32 v88, v218
	v_fmac_f32_e32 v88, 0xbe8c1d8e, v102
	v_mul_f32_e32 v217, 0x3eb8f4ab, v184
	v_add_f32_e32 v81, v88, v81
	v_mov_b32_e32 v88, v217
	;; [unrolled: 4-line block ×6, first 2 shown]
	v_fmac_f32_e32 v88, 0x3f3d2fb0, v107
	v_add_f32_e32 v222, v88, v81
	v_mul_f32_e32 v81, 0x3ee437d1, v114
	v_mov_b32_e32 v90, v81
	v_mul_f32_e32 v127, 0xbf1a4643, v115
	v_fmac_f32_e32 v90, 0x3f65296c, v92
	v_mov_b32_e32 v91, v127
	v_add_f32_e32 v90, v172, v90
	v_fmac_f32_e32 v91, 0x3f4c4adb, v93
	v_mul_f32_e32 v129, 0xbf7ba420, v116
	v_add_f32_e32 v90, v91, v90
	v_mov_b32_e32 v91, v129
	v_fmac_f32_e32 v91, 0xbe3c28d5, v94
	v_mul_f32_e32 v130, 0xbe8c1d8e, v117
	v_add_f32_e32 v90, v91, v90
	v_mov_b32_e32 v91, v130
	;; [unrolled: 4-line block ×7, first 2 shown]
	v_mul_f32_e32 v185, 0xbf4c4adb, v181
	v_fmac_f32_e32 v90, 0x3ee437d1, v100
	v_mov_b32_e32 v209, v185
	v_mul_f32_e32 v137, 0x3e3c28d5, v183
	v_add_f32_e32 v90, v171, v90
	v_fmac_f32_e32 v209, 0xbf1a4643, v101
	v_mov_b32_e32 v138, v137
	v_add_f32_e32 v90, v209, v90
	v_fmac_f32_e32 v138, 0xbf7ba420, v102
	v_add_f32_e32 v90, v138, v90
	v_mul_f32_e32 v138, 0x3f763a35, v184
	v_mov_b32_e32 v209, v138
	v_mul_f32_e32 v139, 0x3f2c7751, v211
	s_waitcnt vmcnt(0)
	v_fma_f32 v68, v103, s3, -v68
	v_add_f32_e32 v2, v68, v2
	buffer_load_dword v68, off, s[20:23], 0 offset:176 ; 4-byte Folded Reload
	v_fmac_f32_e32 v209, 0xbe8c1d8e, v103
	v_mov_b32_e32 v236, v140
	v_mov_b32_e32 v140, v139
	v_add_f32_e32 v90, v209, v90
	v_fmac_f32_e32 v140, 0x3f3d2fb0, v104
	v_add_f32_e32 v90, v140, v90
	v_mul_f32_e32 v140, 0xbeb8f4ab, v213
	v_mov_b32_e32 v209, v140
	v_mul_f32_e32 v141, 0xbf7ee86f, v214
	v_fmac_f32_e32 v209, 0x3f6eb680, v105
	v_mov_b32_e32 v142, v141
	v_add_f32_e32 v90, v209, v90
	v_fmac_f32_e32 v142, 0x3dbcf732, v106
	v_add_f32_e32 v90, v142, v90
	v_mul_f32_e32 v142, 0xbf06c442, v215
	v_mov_b32_e32 v209, v142
	v_fmac_f32_e32 v209, 0xbf59a7d5, v107
	v_add_f32_e32 v198, v209, v90
	v_mov_b32_e32 v89, v143
	v_mov_b32_e32 v90, v144
	v_mul_f32_e32 v143, 0x3f3d2fb0, v114
	v_mov_b32_e32 v144, v143
	v_mul_f32_e32 v145, 0x3dbcf732, v115
	v_fmac_f32_e32 v144, 0x3f2c7751, v92
	v_mov_b32_e32 v146, v145
	v_fmac_f32_e32 v186, 0xbf7ee86f, v92
	v_add_f32_e32 v144, v172, v144
	v_fmac_f32_e32 v146, 0x3f7ee86f, v93
	v_fmac_f32_e32 v187, 0xbe3c28d5, v93
	v_add_f32_e32 v144, v146, v144
	v_mul_f32_e32 v146, 0xbf1a4643, v116
	v_fmac_f32_e32 v188, 0x3f763a35, v94
	v_mov_b32_e32 v209, v146
	v_mov_b32_e32 v80, v147
	v_mul_f32_e32 v147, 0xbf7ba420, v117
	v_fmac_f32_e32 v189, 0x3eb8f4ab, v95
	v_fmac_f32_e32 v209, 0x3f4c4adb, v94
	v_mov_b32_e32 v148, v147
	v_fmac_f32_e32 v190, 0xbf65296c, v96
	v_add_f32_e32 v144, v209, v144
	v_fmac_f32_e32 v148, 0x3e3c28d5, v95
	v_fmac_f32_e32 v191, 0xbf06c442, v97
	v_add_f32_e32 v144, v148, v144
	v_mul_f32_e32 v148, 0xbf59a7d5, v118
	v_fmac_f32_e32 v192, 0x3f4c4adb, v98
	v_mov_b32_e32 v209, v148
	v_fmac_f32_e32 v193, 0x3f2c7751, v99
	v_fmac_f32_e32 v209, 0xbf06c442, v96
	buffer_store_dword v182, off, s[20:23], 0 offset:164 ; 4-byte Folded Spill
	v_mul_f32_e32 v182, 0xbe8c1d8e, v119
	v_add_f32_e32 v144, v209, v144
	v_mov_b32_e32 v209, v182
	v_mul_f32_e32 v128, 0x3ee437d1, v178
	v_fma_f32 v76, v101, s15, -v220
	v_fmac_f32_e32 v209, 0xbf763a35, v97
	v_mov_b32_e32 v83, v128
	v_add_f32_e32 v144, v209, v144
	v_fmac_f32_e32 v83, 0xbf65296c, v98
	v_add_f32_e32 v83, v83, v144
	v_mul_f32_e32 v144, 0x3f6eb680, v179
	v_mov_b32_e32 v209, v144
	v_fmac_f32_e32 v209, 0xbeb8f4ab, v99
	v_mul_f32_e32 v91, 0xbf2c7751, v180
	v_add_f32_e32 v210, v209, v83
	v_mov_b32_e32 v209, v91
	v_mul_f32_e32 v86, 0xbf7ee86f, v181
	v_fmac_f32_e32 v81, 0xbf65296c, v92
	v_fmac_f32_e32 v209, 0x3f3d2fb0, v100
	v_mov_b32_e32 v85, v86
	v_mul_f32_e32 v84, 0xbf4c4adb, v183
	v_fmac_f32_e32 v127, 0xbf4c4adb, v93
	v_add_f32_e32 v209, v171, v209
	v_fmac_f32_e32 v85, 0x3dbcf732, v101
	v_mov_b32_e32 v87, v84
	v_fmac_f32_e32 v129, 0x3e3c28d5, v94
	v_add_f32_e32 v85, v85, v209
	v_fmac_f32_e32 v87, 0xbf1a4643, v102
	v_fmac_f32_e32 v130, 0x3f763a35, v95
	v_add_f32_e32 v85, v87, v85
	s_waitcnt vmcnt(1)
	v_fma_f32 v68, v104, s13, -v68
	v_add_f32_e32 v2, v68, v2
	buffer_load_dword v68, off, s[20:23], 0 offset:180 ; 4-byte Folded Reload
	v_mul_f32_e32 v87, 0xbe3c28d5, v184
	v_fmac_f32_e32 v131, 0x3f2c7751, v96
	v_mov_b32_e32 v209, v87
	v_mul_f32_e32 v120, 0x3f06c442, v211
	v_fmac_f32_e32 v132, 0xbeb8f4ab, v97
	v_fmac_f32_e32 v209, 0xbf7ba420, v103
	v_mov_b32_e32 v88, v120
	v_fmac_f32_e32 v133, 0xbf7ee86f, v98
	v_add_f32_e32 v85, v209, v85
	v_fmac_f32_e32 v88, 0xbf59a7d5, v104
	v_fmac_f32_e32 v134, 0xbf06c442, v99
	v_add_f32_e32 v85, v88, v85
	v_mul_f32_e32 v88, 0x3f763a35, v213
	v_mov_b32_e32 v209, v88
	v_fma_f32 v78, v101, s13, -v185
	v_fmac_f32_e32 v209, 0xbe8c1d8e, v105
	v_mul_f32_e32 v83, 0x3f65296c, v214
	v_add_f32_e32 v85, v209, v85
	v_mov_b32_e32 v209, v83
	v_fmac_f32_e32 v209, 0x3ee437d1, v106
	v_mul_f32_e32 v197, 0x3eb8f4ab, v215
	v_add_f32_e32 v85, v209, v85
	v_mov_b32_e32 v209, v197
	v_fmac_f32_e32 v209, 0x3f6eb680, v107
	v_add_f32_e32 v209, v209, v85
	v_mul_f32_e32 v85, 0x3f6eb680, v114
	v_fmac_f32_e32 v143, 0xbf2c7751, v92
	v_mov_b32_e32 v114, v85
	v_mul_f32_e32 v115, 0x3f3d2fb0, v115
	v_fmac_f32_e32 v145, 0xbf7ee86f, v93
	v_fmac_f32_e32 v114, 0x3eb8f4ab, v92
	v_mov_b32_e32 v212, v115
	v_fmac_f32_e32 v146, 0xbf4c4adb, v94
	v_add_f32_e32 v114, v172, v114
	v_fmac_f32_e32 v212, 0x3f2c7751, v93
	v_mul_f32_e32 v116, 0x3ee437d1, v116
	v_fmac_f32_e32 v147, 0xbe3c28d5, v95
	v_add_f32_e32 v114, v212, v114
	v_mov_b32_e32 v212, v116
	v_fmac_f32_e32 v148, 0x3f06c442, v96
	v_fmac_f32_e32 v212, 0x3f65296c, v94
	v_mul_f32_e32 v117, 0x3dbcf732, v117
	v_fmac_f32_e32 v182, 0x3f763a35, v97
	v_add_f32_e32 v114, v212, v114
	v_mov_b32_e32 v212, v117
	v_fmac_f32_e32 v128, 0x3f65296c, v98
	;; [unrolled: 6-line block ×3, first 2 shown]
	v_mul_f32_e32 v119, 0xbf1a4643, v119
	v_add_f32_e32 v114, v212, v114
	v_mov_b32_e32 v212, v119
	v_fmac_f32_e32 v212, 0x3f4c4adb, v97
	v_mul_f32_e32 v178, 0xbf59a7d5, v178
	v_add_f32_e32 v114, v212, v114
	v_mov_b32_e32 v212, v178
	v_fmac_f32_e32 v212, 0x3f06c442, v98
	;; [unrolled: 4-line block ×3, first 2 shown]
	v_fmac_f32_e32 v85, 0xbeb8f4ab, v92
	v_add_f32_e32 v212, v212, v114
	v_mul_f32_e32 v114, 0xbeb8f4ab, v180
	v_fmac_f32_e32 v115, 0xbf2c7751, v93
	v_mov_b32_e32 v180, v114
	v_mul_f32_e32 v82, 0xbf2c7751, v181
	v_fmac_f32_e32 v116, 0xbf65296c, v94
	v_fmac_f32_e32 v180, 0x3f6eb680, v100
	v_mov_b32_e32 v181, v82
	v_fmac_f32_e32 v117, 0xbf7ee86f, v95
	v_add_f32_e32 v180, v171, v180
	v_fmac_f32_e32 v181, 0x3f3d2fb0, v101
	v_fmac_f32_e32 v118, 0xbf763a35, v96
	v_add_f32_e32 v180, v181, v180
	v_mul_f32_e32 v181, 0xbf65296c, v183
	s_waitcnt vmcnt(0)
	v_fma_f32 v68, v105, s4, -v68
	v_add_f32_e32 v2, v68, v2
	buffer_load_dword v68, off, s[20:23], 0 offset:184 ; 4-byte Folded Reload
	v_fmac_f32_e32 v119, 0xbf4c4adb, v97
	v_mov_b32_e32 v183, v181
	v_fmac_f32_e32 v178, 0xbf06c442, v98
	v_fmac_f32_e32 v183, 0x3ee437d1, v102
	;; [unrolled: 1-line block ×3, first 2 shown]
	v_add_f32_e32 v180, v183, v180
	v_mul_f32_e32 v183, 0xbf7ee86f, v184
	v_mov_b32_e32 v184, v183
	v_fmac_f32_e32 v184, 0x3dbcf732, v103
	v_add_f32_e32 v180, v184, v180
	v_mul_f32_e32 v184, 0xbf763a35, v211
	v_mul_f32_e32 v213, 0xbf4c4adb, v213
	;; [unrolled: 1-line block ×4, first 2 shown]
	buffer_load_dword v153, off, s[20:23], 0 offset:136 ; 4-byte Folded Reload
	v_mov_b32_e32 v211, v184
	v_fmac_f32_e32 v211, 0xbe8c1d8e, v104
	v_add_f32_e32 v180, v211, v180
	v_mov_b32_e32 v211, v213
	v_fmac_f32_e32 v211, 0xbf1a4643, v105
	v_add_f32_e32 v180, v211, v180
	;; [unrolled: 3-line block ×4, first 2 shown]
	s_waitcnt vmcnt(1)
	v_fma_f32 v68, v106, s12, -v68
	v_add_f32_e32 v2, v68, v2
	buffer_load_dword v68, off, s[20:23], 0 offset:188 ; 4-byte Folded Reload
	s_waitcnt vmcnt(0)
	v_fma_f32 v68, v107, s5, -v68
	v_add_f32_e32 v2, v68, v2
	v_add_f32_e32 v68, v172, v201
	;; [unrolled: 1-line block ×9, first 2 shown]
	buffer_load_dword v68, off, s[20:23], 0 offset:192 ; 4-byte Folded Reload
	s_waitcnt vmcnt(0)
	v_fma_f32 v68, v100, s14, -v68
	v_add_f32_e32 v68, v171, v68
	v_add_f32_e32 v68, v70, v68
	buffer_load_dword v70, off, s[20:23], 0 offset:200 ; 4-byte Folded Reload
	s_waitcnt vmcnt(0)
	v_fma_f32 v70, v102, s5, -v70
	v_add_f32_e32 v68, v70, v68
	buffer_load_dword v70, off, s[20:23], 0 offset:204 ; 4-byte Folded Reload
	s_waitcnt vmcnt(0)
	v_fma_f32 v70, v103, s13, -v70
	;; [unrolled: 4-line block ×6, first 2 shown]
	v_add_f32_e32 v68, v70, v68
	v_add_f32_e32 v70, v172, v224
	;; [unrolled: 1-line block ×9, first 2 shown]
	buffer_load_dword v70, off, s[20:23], 0 offset:224 ; 4-byte Folded Reload
	s_waitcnt vmcnt(0)
	v_fma_f32 v70, v100, s13, -v70
	v_add_f32_e32 v70, v171, v70
	v_add_f32_e32 v70, v72, v70
	buffer_load_dword v72, off, s[20:23], 0 offset:232 ; 4-byte Folded Reload
	s_waitcnt vmcnt(0)
	v_fma_f32 v72, v102, s2, -v72
	v_add_f32_e32 v70, v72, v70
	buffer_load_dword v72, off, s[20:23], 0 offset:236 ; 4-byte Folded Reload
	s_waitcnt vmcnt(0)
	v_fma_f32 v72, v103, s14, -v72
	;; [unrolled: 4-line block ×6, first 2 shown]
	v_add_f32_e32 v70, v72, v70
	v_add_f32_e32 v72, v172, v240
	;; [unrolled: 1-line block ×9, first 2 shown]
	v_fma_f32 v72, v100, s12, -v156
	v_add_f32_e32 v72, v171, v72
	buffer_load_dword v156, off, s[20:23], 0 offset:160 ; 4-byte Folded Reload
	v_add_f32_e32 v72, v74, v72
	buffer_load_dword v74, off, s[20:23], 0 offset:256 ; 4-byte Folded Reload
	s_waitcnt vmcnt(0)
	v_fma_f32 v74, v102, s3, -v74
	v_add_f32_e32 v72, v74, v72
	buffer_load_dword v74, off, s[20:23], 0 offset:260 ; 4-byte Folded Reload
	s_waitcnt vmcnt(0)
	v_fma_f32 v74, v103, s4, -v74
	v_add_f32_e32 v72, v74, v72
	v_fma_f32 v74, v104, s15, -v252
	v_add_f32_e32 v72, v74, v72
	;; [unrolled: 2-line block ×5, first 2 shown]
	v_add_f32_e32 v74, v172, v186
	v_add_f32_e32 v74, v187, v74
	v_add_f32_e32 v74, v188, v74
	v_add_f32_e32 v74, v189, v74
	v_add_f32_e32 v74, v190, v74
	v_add_f32_e32 v74, v191, v74
	v_add_f32_e32 v74, v192, v74
	v_add_f32_e32 v75, v193, v74
	v_fma_f32 v74, v100, s5, -v221
	v_add_f32_e32 v74, v171, v74
	v_add_f32_e32 v74, v76, v74
	v_fma_f32 v76, v102, s12, -v218
	v_add_f32_e32 v74, v76, v74
	v_fma_f32 v76, v103, s2, -v217
	;; [unrolled: 2-line block ×6, first 2 shown]
	v_add_f32_e32 v74, v76, v74
	v_add_f32_e32 v76, v172, v81
	;; [unrolled: 1-line block ×9, first 2 shown]
	v_fma_f32 v76, v100, s4, -v237
	v_add_f32_e32 v76, v171, v76
	v_add_f32_e32 v76, v78, v76
	v_fma_f32 v78, v102, s15, -v137
	v_add_f32_e32 v76, v78, v76
	v_fma_f32 v78, v103, s12, -v138
	;; [unrolled: 2-line block ×6, first 2 shown]
	v_add_f32_e32 v76, v78, v76
	v_add_f32_e32 v78, v172, v143
	;; [unrolled: 1-line block ×9, first 2 shown]
	v_fma_f32 v78, v100, s3, -v91
	v_add_f32_e32 v78, v171, v78
	v_fma_f32 v81, v101, s5, -v86
	v_mov_b32_e32 v147, v80
	v_add_f32_e32 v78, v81, v78
	v_fma_f32 v80, v102, s13, -v84
	v_add_f32_e32 v78, v80, v78
	v_fma_f32 v80, v103, s15, -v87
	;; [unrolled: 2-line block ×6, first 2 shown]
	v_add_f32_e32 v78, v80, v78
	v_add_f32_e32 v80, v172, v85
	;; [unrolled: 1-line block ×9, first 2 shown]
	v_fma_f32 v80, v100, s2, -v114
	v_add_f32_e32 v80, v171, v80
	v_fma_f32 v81, v101, s3, -v82
	v_add_f32_e32 v80, v81, v80
	;; [unrolled: 2-line block ×7, first 2 shown]
	v_fma_f32 v81, v107, s15, -v215
	buffer_load_dword v186, off, s[20:23], 0 offset:148 ; 4-byte Folded Reload
	buffer_load_dword v187, off, s[20:23], 0 offset:152 ; 4-byte Folded Reload
	;; [unrolled: 1-line block ×6, first 2 shown]
	v_add_f32_e32 v92, v81, v80
	buffer_load_dword v80, off, s[20:23], 0 offset:60 ; 4-byte Folded Reload
	buffer_load_dword v81, off, s[20:23], 0 ; 4-byte Folded Reload
	v_mov_b32_e32 v144, v90
	v_mov_b32_e32 v140, v236
	;; [unrolled: 1-line block ×3, first 2 shown]
	s_waitcnt vmcnt(0)
	v_lshl_add_u32 v80, v80, 3, v81
	ds_write2_b64 v80, v[0:1], v[211:212] offset1:1
	ds_write2_b64 v80, v[209:210], v[198:199] offset0:2 offset1:3
	ds_write2_b64 v80, v[222:223], v[234:235] offset0:4 offset1:5
	;; [unrolled: 1-line block ×7, first 2 shown]
	ds_write_b64 v80, v[92:93] offset:128
.LBB0_13:
	s_or_b64 exec, exec, s[0:1]
	s_waitcnt lgkmcnt(0)
	; wave barrier
	s_waitcnt lgkmcnt(0)
	ds_read2_b64 v[68:71], v177 offset1:17
	ds_read2_b64 v[72:75], v177 offset0:136 offset1:153
	v_add_u32_e32 v2, 0x800, v177
	ds_read2_b64 v[76:79], v2 offset0:16 offset1:33
	ds_read2_b64 v[80:83], v177 offset0:34 offset1:51
	;; [unrolled: 1-line block ×10, first 2 shown]
	s_waitcnt lgkmcnt(0)
	; wave barrier
	s_waitcnt lgkmcnt(0)
	v_mul_f32_e32 v114, v5, v73
	v_mul_f32_e32 v3, v5, v72
	v_fmac_f32_e32 v114, v4, v72
	v_fma_f32 v72, v4, v73, -v3
	v_mul_f32_e32 v73, v7, v77
	v_mul_f32_e32 v3, v7, v76
	v_fmac_f32_e32 v73, v6, v76
	v_fma_f32 v76, v6, v77, -v3
	;; [unrolled: 4-line block ×10, first 2 shown]
	v_mul_f32_e32 v101, v25, v99
	v_mul_f32_e32 v3, v25, v98
	v_add_f32_e32 v6, v72, v76
	v_fmac_f32_e32 v101, v24, v98
	v_fma_f32 v98, v24, v99, -v3
	v_mul_f32_e32 v99, v27, v103
	v_mul_f32_e32 v3, v27, v102
	v_fma_f32 v6, -0.5, v6, v69
	v_fmac_f32_e32 v99, v26, v102
	v_fma_f32 v102, v26, v103, -v3
	v_mul_f32_e32 v103, v21, v109
	v_mul_f32_e32 v3, v21, v108
	v_sub_f32_e32 v9, v114, v73
	v_mov_b32_e32 v8, v6
	v_add_f32_e32 v10, v77, v75
	v_fmac_f32_e32 v103, v20, v108
	v_fma_f32 v108, v20, v109, -v3
	v_mul_f32_e32 v3, v23, v149
	v_fmac_f32_e32 v8, 0x3f5db3d7, v9
	v_fmac_f32_e32 v6, 0xbf5db3d7, v9
	v_add_f32_e32 v9, v70, v77
	v_fma_f32 v70, -0.5, v10, v70
	v_fma_f32 v115, v22, v150, -v3
	v_mul_f32_e32 v116, v29, v111
	v_mul_f32_e32 v3, v29, v110
	v_sub_f32_e32 v10, v74, v78
	v_mov_b32_e32 v11, v70
	v_add_f32_e32 v12, v74, v78
	v_add_f32_e32 v16, v84, v88
	v_mul_f32_e32 v109, v23, v150
	v_fmac_f32_e32 v116, v28, v110
	v_fma_f32 v110, v28, v111, -v3
	v_mul_f32_e32 v111, v31, v152
	v_add_f32_e32 v9, v9, v75
	v_fmac_f32_e32 v11, 0xbf5db3d7, v10
	v_fmac_f32_e32 v70, 0x3f5db3d7, v10
	v_add_f32_e32 v10, v71, v74
	v_fmac_f32_e32 v71, -0.5, v12
	v_sub_f32_e32 v13, v77, v75
	v_fma_f32 v16, -0.5, v16, v81
	v_add_f32_e32 v26, v96, v100
	v_add_f32_e32 v75, v108, v115
	v_fmac_f32_e32 v109, v22, v149
	v_fmac_f32_e32 v111, v30, v151
	v_mul_f32_e32 v3, v31, v151
	v_add_f32_e32 v4, v114, v73
	v_mov_b32_e32 v12, v71
	v_sub_f32_e32 v19, v79, v85
	v_mov_b32_e32 v18, v16
	v_add_f32_e32 v20, v89, v87
	v_fma_f32 v26, -0.5, v26, v93
	v_fma_f32 v75, -0.5, v75, v105
	v_fma_f32 v31, v30, v152, -v3
	v_fma_f32 v5, -0.5, v4, v68
	v_add_f32_e32 v10, v10, v78
	v_fmac_f32_e32 v12, 0x3f5db3d7, v13
	v_fmac_f32_e32 v71, 0xbf5db3d7, v13
	v_add_f32_e32 v13, v80, v79
	v_add_f32_e32 v14, v79, v85
	v_fmac_f32_e32 v18, 0x3f5db3d7, v19
	v_fmac_f32_e32 v16, 0xbf5db3d7, v19
	v_add_f32_e32 v19, v82, v89
	v_fma_f32 v82, -0.5, v20, v82
	v_sub_f32_e32 v29, v91, v97
	v_mov_b32_e32 v28, v26
	v_add_f32_e32 v30, v101, v99
	v_sub_f32_e32 v78, v103, v109
	v_mov_b32_e32 v77, v75
	v_add_f32_e32 v79, v116, v111
	v_add_f32_e32 v3, v68, v114
	v_sub_f32_e32 v4, v72, v76
	v_mov_b32_e32 v7, v5
	v_sub_f32_e32 v20, v86, v90
	v_mov_b32_e32 v21, v82
	v_add_f32_e32 v22, v86, v90
	v_add_f32_e32 v24, v91, v97
	v_fmac_f32_e32 v28, 0x3f5db3d7, v29
	v_fmac_f32_e32 v26, 0xbf5db3d7, v29
	v_add_f32_e32 v29, v94, v101
	v_fma_f32 v94, -0.5, v30, v94
	v_fmac_f32_e32 v77, 0x3f5db3d7, v78
	v_fmac_f32_e32 v75, 0xbf5db3d7, v78
	v_add_f32_e32 v78, v106, v116
	v_fma_f32 v106, -0.5, v79, v106
	v_add_f32_e32 v3, v3, v73
	v_fmac_f32_e32 v7, 0xbf5db3d7, v4
	v_fmac_f32_e32 v5, 0x3f5db3d7, v4
	v_add_f32_e32 v4, v69, v72
	v_fma_f32 v15, -0.5, v14, v80
	v_fmac_f32_e32 v21, 0xbf5db3d7, v20
	v_fmac_f32_e32 v82, 0x3f5db3d7, v20
	v_add_f32_e32 v20, v83, v86
	v_fmac_f32_e32 v83, -0.5, v22
	v_fma_f32 v25, -0.5, v24, v92
	v_sub_f32_e32 v30, v98, v102
	v_mov_b32_e32 v68, v94
	v_add_f32_e32 v69, v98, v102
	v_add_f32_e32 v73, v103, v109
	v_sub_f32_e32 v79, v110, v31
	v_mov_b32_e32 v80, v106
	v_sub_f32_e32 v14, v84, v88
	v_mov_b32_e32 v17, v15
	;; [unrolled: 2-line block ×4, first 2 shown]
	v_fmac_f32_e32 v68, 0xbf5db3d7, v30
	v_fmac_f32_e32 v94, 0x3f5db3d7, v30
	v_add_f32_e32 v30, v95, v98
	v_fmac_f32_e32 v95, -0.5, v69
	v_fma_f32 v74, -0.5, v73, v104
	v_fmac_f32_e32 v80, 0xbf5db3d7, v79
	v_fmac_f32_e32 v106, 0x3f5db3d7, v79
	v_add_f32_e32 v79, v107, v110
	v_add_f32_e32 v4, v4, v76
	v_fmac_f32_e32 v17, 0xbf5db3d7, v14
	v_fmac_f32_e32 v15, 0x3f5db3d7, v14
	v_add_f32_e32 v14, v81, v84
	v_fmac_f32_e32 v22, 0x3f5db3d7, v23
	v_fmac_f32_e32 v83, 0xbf5db3d7, v23
	;; [unrolled: 3-line block ×3, first 2 shown]
	v_add_f32_e32 v24, v93, v96
	v_sub_f32_e32 v72, v101, v99
	v_mov_b32_e32 v69, v95
	v_sub_f32_e32 v73, v108, v115
	v_mov_b32_e32 v76, v74
	v_add_f32_e32 v79, v79, v31
	v_add_f32_e32 v31, v110, v31
	;; [unrolled: 1-line block ×10, first 2 shown]
	v_fmac_f32_e32 v69, 0x3f5db3d7, v72
	v_fmac_f32_e32 v95, 0xbf5db3d7, v72
	v_add_f32_e32 v72, v104, v103
	v_fmac_f32_e32 v76, 0xbf5db3d7, v73
	v_fmac_f32_e32 v74, 0x3f5db3d7, v73
	v_add_f32_e32 v73, v105, v108
	v_fmac_f32_e32 v107, -0.5, v31
	ds_write2_b64 v177, v[3:4], v[7:8] offset1:17
	ds_write2_b64 v177, v[5:6], v[9:10] offset0:34 offset1:51
	ds_write2_b64 v177, v[11:12], v[70:71] offset0:68 offset1:85
	;; [unrolled: 1-line block ×3, first 2 shown]
	ds_write_b64 v153, v[15:16] offset:1088
	ds_write2_b64 v159, v[19:20], v[21:22] offset0:153 offset1:170
	ds_write_b64 v159, v[82:83] offset:1496
	ds_write2_b64 v160, v[23:24], v[27:28] offset0:204 offset1:221
	ds_write_b64 v160, v[25:26] offset:1904
	v_add_u32_e32 v3, 0x400, v186
	v_add_f32_e32 v72, v72, v109
	v_add_f32_e32 v73, v73, v115
	v_sub_f32_e32 v31, v116, v111
	v_mov_b32_e32 v81, v107
	ds_write2_b64 v3, v[29:30], v[68:69] offset0:127 offset1:144
	ds_write_b64 v186, v[94:95] offset:2312
	v_add_u32_e32 v3, 0x800, v187
	v_add_f32_e32 v78, v78, v111
	v_fmac_f32_e32 v81, 0x3f5db3d7, v31
	ds_write2_b64 v3, v[72:73], v[76:77] offset0:50 offset1:67
	ds_write_b64 v187, v[74:75] offset:2720
	v_add_u32_e32 v3, 0x800, v188
	v_fmac_f32_e32 v107, 0xbf5db3d7, v31
	ds_write2_b64 v3, v[78:79], v[80:81] offset0:101 offset1:118
	ds_write_b64 v188, v[106:107] offset:3128
	s_waitcnt lgkmcnt(0)
	; wave barrier
	s_waitcnt lgkmcnt(0)
	ds_read2_b64 v[3:6], v177 offset1:17
	ds_read2_b64 v[7:10], v177 offset0:34 offset1:51
	ds_read2_b64 v[11:14], v177 offset0:102 offset1:119
	;; [unrolled: 1-line block ×11, first 2 shown]
	s_waitcnt lgkmcnt(10)
	v_mul_f32_e32 v31, v49, v10
	v_fmac_f32_e32 v31, v48, v9
	v_mul_f32_e32 v9, v49, v9
	v_fma_f32 v9, v48, v10, -v9
	s_waitcnt lgkmcnt(9)
	v_mul_f32_e32 v10, v51, v12
	v_fmac_f32_e32 v10, v50, v11
	v_mul_f32_e32 v11, v51, v11
	v_fma_f32 v11, v50, v12, -v11
	;; [unrolled: 5-line block ×5, first 2 shown]
	s_waitcnt lgkmcnt(5)
	v_mul_f32_e32 v26, v35, v28
	v_fmac_f32_e32 v26, v34, v27
	v_mul_f32_e32 v27, v35, v27
	v_mul_f32_e32 v35, v63, v14
	v_fmac_f32_e32 v35, v62, v13
	v_mul_f32_e32 v13, v63, v13
	v_fma_f32 v40, v62, v14, -v13
	s_waitcnt lgkmcnt(2)
	v_mul_f32_e32 v13, v45, v76
	v_mul_f32_e32 v41, v45, v77
	v_fma_f32 v42, v44, v77, -v13
	v_mul_f32_e32 v13, v47, v21
	v_fmac_f32_e32 v41, v44, v76
	v_fma_f32 v44, v46, v22, -v13
	s_waitcnt lgkmcnt(1)
	v_mul_f32_e32 v45, v37, v81
	v_mul_f32_e32 v13, v37, v80
	v_fmac_f32_e32 v45, v36, v80
	v_fma_f32 v36, v36, v81, -v13
	v_mul_f32_e32 v37, v39, v30
	v_mul_f32_e32 v13, v39, v29
	v_fmac_f32_e32 v37, v38, v29
	v_fma_f32 v29, v38, v30, -v13
	s_waitcnt lgkmcnt(0)
	v_mul_f32_e32 v13, v168, v84
	v_mul_f32_e32 v43, v47, v22
	v_fma_f32 v38, v167, v85, -v13
	v_mul_f32_e32 v13, v65, v74
	v_fmac_f32_e32 v43, v46, v21
	v_fma_f32 v46, v64, v75, -v13
	v_mul_f32_e32 v13, v67, v15
	v_fma_f32 v48, v66, v16, -v13
	v_mul_f32_e32 v13, v57, v78
	v_mul_f32_e32 v49, v57, v79
	v_fma_f32 v50, v56, v79, -v13
	v_mul_f32_e32 v13, v59, v23
	v_fmac_f32_e32 v49, v56, v78
	v_fma_f32 v56, v58, v24, -v13
	v_mul_f32_e32 v57, v53, v83
	v_mul_f32_e32 v13, v53, v82
	v_fma_f32 v27, v34, v28, -v27
	v_mul_f32_e32 v28, v166, v71
	v_mul_f32_e32 v32, v166, v70
	v_fmac_f32_e32 v57, v52, v82
	v_fma_f32 v52, v52, v83, -v13
	v_mul_f32_e32 v53, v55, v69
	v_mul_f32_e32 v13, v55, v68
	v_fmac_f32_e32 v28, v165, v70
	v_fma_f32 v32, v165, v71, -v32
	v_mul_f32_e32 v47, v67, v16
	v_mul_f32_e32 v51, v59, v24
	v_fmac_f32_e32 v53, v54, v68
	v_fma_f32 v54, v54, v69, -v13
	v_mul_f32_e32 v13, v170, v86
	v_fmac_f32_e32 v47, v66, v15
	v_fmac_f32_e32 v51, v58, v23
	v_fma_f32 v58, v169, v87, -v13
	v_sub_f32_e32 v13, v3, v18
	v_sub_f32_e32 v14, v4, v19
	;; [unrolled: 1-line block ×8, first 2 shown]
	v_fma_f32 v3, v3, 2.0, -v13
	v_fma_f32 v4, v4, 2.0, -v14
	;; [unrolled: 1-line block ×8, first 2 shown]
	v_sub_f32_e32 v23, v3, v10
	v_sub_f32_e32 v24, v4, v11
	v_add_f32_e32 v25, v13, v16
	v_sub_f32_e32 v26, v14, v15
	v_sub_f32_e32 v16, v20, v12
	;; [unrolled: 1-line block ×3, first 2 shown]
	v_fma_f32 v10, v3, 2.0, -v23
	v_fma_f32 v11, v4, 2.0, -v24
	;; [unrolled: 1-line block ×4, first 2 shown]
	v_sub_f32_e32 v21, v19, v21
	v_mov_b32_e32 v20, v26
	v_mul_f32_e32 v33, v61, v73
	v_mul_f32_e32 v34, v61, v72
	v_fma_f32 v13, v13, 2.0, -v25
	v_add_f32_e32 v22, v18, v22
	v_sub_f32_e32 v3, v10, v3
	v_sub_f32_e32 v4, v11, v4
	v_fmac_f32_e32 v20, 0x3f3504f3, v21
	v_fmac_f32_e32 v33, v60, v72
	v_fma_f32 v34, v60, v73, -v34
	v_fma_f32 v14, v14, 2.0, -v26
	v_fma_f32 v17, v18, 2.0, -v22
	;; [unrolled: 1-line block ×5, first 2 shown]
	v_mov_b32_e32 v11, v13
	v_mov_b32_e32 v19, v25
	v_fmac_f32_e32 v20, 0xbf3504f3, v22
	v_mul_f32_e32 v30, v168, v85
	v_fmac_f32_e32 v11, 0xbf3504f3, v17
	v_mov_b32_e32 v12, v14
	v_sub_f32_e32 v16, v24, v16
	v_fmac_f32_e32 v19, 0x3f3504f3, v22
	v_fma_f32 v22, v26, 2.0, -v20
	v_sub_f32_e32 v26, v40, v29
	v_sub_f32_e32 v29, v33, v45
	;; [unrolled: 1-line block ×3, first 2 shown]
	v_fmac_f32_e32 v30, v167, v84
	v_fmac_f32_e32 v12, 0xbf3504f3, v18
	;; [unrolled: 1-line block ×3, first 2 shown]
	v_add_f32_e32 v15, v23, v15
	v_fma_f32 v18, v24, 2.0, -v16
	v_fmac_f32_e32 v19, 0x3f3504f3, v21
	v_sub_f32_e32 v24, v6, v44
	v_fma_f32 v32, v33, 2.0, -v29
	v_fma_f32 v33, v34, 2.0, -v31
	v_sub_f32_e32 v34, v42, v38
	v_fmac_f32_e32 v12, 0xbf3504f3, v17
	v_fma_f32 v17, v23, 2.0, -v15
	v_fma_f32 v21, v25, 2.0, -v19
	v_sub_f32_e32 v23, v5, v43
	v_fma_f32 v6, v6, 2.0, -v24
	v_sub_f32_e32 v25, v35, v37
	;; [unrolled: 2-line block ×3, first 2 shown]
	v_fma_f32 v36, v42, 2.0, -v34
	v_fma_f32 v27, v35, 2.0, -v25
	;; [unrolled: 1-line block ×3, first 2 shown]
	v_sub_f32_e32 v38, v6, v28
	v_add_f32_e32 v40, v23, v26
	v_sub_f32_e32 v41, v24, v25
	v_sub_f32_e32 v36, v33, v36
	v_fma_f32 v5, v5, 2.0, -v23
	v_fma_f32 v28, v6, 2.0, -v38
	;; [unrolled: 1-line block ×5, first 2 shown]
	v_add_f32_e32 v44, v29, v34
	v_sub_f32_e32 v45, v31, v30
	v_mov_b32_e32 v33, v40
	v_mov_b32_e32 v34, v41
	v_sub_f32_e32 v37, v5, v27
	v_sub_f32_e32 v35, v32, v35
	v_fma_f32 v29, v29, 2.0, -v44
	v_fma_f32 v30, v31, 2.0, -v45
	v_mov_b32_e32 v25, v42
	v_mov_b32_e32 v26, v43
	v_fmac_f32_e32 v33, 0x3f3504f3, v44
	v_fmac_f32_e32 v34, 0x3f3504f3, v45
	v_mul_f32_e32 v39, v65, v75
	v_mul_f32_e32 v55, v170, v87
	v_fma_f32 v27, v5, 2.0, -v37
	v_fma_f32 v5, v32, 2.0, -v35
	v_fmac_f32_e32 v25, 0xbf3504f3, v29
	v_fmac_f32_e32 v26, 0xbf3504f3, v30
	;; [unrolled: 1-line block ×6, first 2 shown]
	v_sub_f32_e32 v5, v27, v5
	v_sub_f32_e32 v6, v28, v6
	v_fmac_f32_e32 v25, 0x3f3504f3, v30
	v_fmac_f32_e32 v26, 0xbf3504f3, v29
	v_add_f32_e32 v29, v37, v36
	v_sub_f32_e32 v30, v38, v35
	v_fma_f32 v35, v40, 2.0, -v33
	v_fma_f32 v36, v41, 2.0, -v34
	v_sub_f32_e32 v40, v47, v53
	v_sub_f32_e32 v41, v48, v54
	v_fma_f32 v23, v27, 2.0, -v5
	v_fma_f32 v24, v28, 2.0, -v6
	;; [unrolled: 1-line block ×6, first 2 shown]
	v_sub_f32_e32 v37, v7, v51
	v_sub_f32_e32 v38, v8, v56
	v_fma_f32 v42, v47, 2.0, -v40
	v_fma_f32 v43, v48, 2.0, -v41
	v_sub_f32_e32 v44, v39, v57
	v_sub_f32_e32 v45, v46, v52
	;; [unrolled: 1-line block ×4, first 2 shown]
	v_fma_f32 v7, v7, 2.0, -v37
	v_fma_f32 v8, v8, 2.0, -v38
	;; [unrolled: 1-line block ×6, first 2 shown]
	v_add_f32_e32 v53, v37, v41
	v_sub_f32_e32 v54, v38, v40
	v_sub_f32_e32 v51, v7, v42
	;; [unrolled: 1-line block ×3, first 2 shown]
	v_fma_f32 v41, v37, 2.0, -v53
	v_fma_f32 v55, v38, 2.0, -v54
	v_sub_f32_e32 v49, v39, v49
	v_sub_f32_e32 v50, v46, v50
	v_add_f32_e32 v56, v44, v48
	v_sub_f32_e32 v57, v45, v47
	v_fma_f32 v42, v7, 2.0, -v51
	v_fma_f32 v43, v8, 2.0, -v52
	;; [unrolled: 1-line block ×6, first 2 shown]
	v_mov_b32_e32 v39, v41
	v_mov_b32_e32 v40, v55
	;; [unrolled: 1-line block ×4, first 2 shown]
	v_sub_f32_e32 v8, v43, v8
	v_fmac_f32_e32 v39, 0xbf3504f3, v44
	v_fmac_f32_e32 v40, 0xbf3504f3, v45
	;; [unrolled: 1-line block ×4, first 2 shown]
	v_sub_f32_e32 v7, v42, v7
	v_fma_f32 v38, v43, 2.0, -v8
	v_fmac_f32_e32 v39, 0x3f3504f3, v45
	v_fmac_f32_e32 v40, 0xbf3504f3, v44
	v_add_f32_e32 v43, v51, v50
	v_sub_f32_e32 v44, v52, v49
	v_fmac_f32_e32 v47, 0x3f3504f3, v57
	v_fmac_f32_e32 v48, 0xbf3504f3, v56
	ds_write2_b64 v177, v[17:18], v[21:22] offset0:102 offset1:153
	ds_write2_b64 v177, v[3:4], v[11:12] offset0:204 offset1:255
	;; [unrolled: 1-line block ×3, first 2 shown]
	ds_write2_b64 v177, v[9:10], v[23:24] offset1:17
	ds_write2_b64 v182, v[27:28], v[31:32] offset0:51 offset1:102
	ds_write2_b64 v182, v[35:36], v[5:6] offset0:153 offset1:204
	v_add_u32_e32 v3, 0x400, v182
	v_fma_f32 v13, v13, 2.0, -v11
	v_fma_f32 v14, v14, 2.0, -v12
	;; [unrolled: 1-line block ×9, first 2 shown]
	ds_write2_b64 v3, v[25:26], v[29:30] offset0:127 offset1:178
	ds_write_b64 v182, v[33:34] offset:2856
	ds_write2_b64 v177, v[37:38], v[13:14] offset0:34 offset1:51
	ds_write2_b64 v156, v[41:42], v[45:46] offset0:51 offset1:102
	;; [unrolled: 1-line block ×3, first 2 shown]
	v_add_u32_e32 v3, 0x400, v156
	ds_write2_b64 v3, v[39:40], v[43:44] offset0:127 offset1:178
	ds_write_b64 v156, v[47:48] offset:2856
	s_waitcnt lgkmcnt(0)
	; wave barrier
	s_waitcnt lgkmcnt(0)
	ds_read2_b64 v[3:6], v177 offset1:24
	buffer_load_dword v9, off, s[20:23], 0 offset:44 ; 4-byte Folded Reload
	buffer_load_dword v10, off, s[20:23], 0 offset:48 ; 4-byte Folded Reload
	v_mad_u64_u32 v[0:1], s[0:1], s10, v140, 0
	s_mov_b32 s2, 0x14141414
	s_mov_b32 s3, 0x3f641414
	v_mad_u64_u32 v[11:12], s[0:1], s11, v140, v[1:2]
	s_waitcnt vmcnt(0) lgkmcnt(0)
	v_mul_f32_e32 v7, v10, v4
	v_fmac_f32_e32 v7, v9, v3
	v_mul_f32_e32 v3, v10, v3
	v_fma_f32 v3, v9, v4, -v3
	v_mad_u64_u32 v[9:10], s[0:1], s8, v147, 0
	v_cvt_f64_f32_e32 v[7:8], v7
	v_cvt_f64_f32_e32 v[3:4], v3
	v_mov_b32_e32 v1, v10
	v_mad_u64_u32 v[12:13], s[0:1], s9, v147, v[1:2]
	v_mul_f64 v[7:8], v[7:8], s[2:3]
	v_mul_f64 v[3:4], v[3:4], s[2:3]
	v_mov_b32_e32 v10, v12
	buffer_load_dword v12, off, s[20:23], 0 offset:36 ; 4-byte Folded Reload
	buffer_load_dword v13, off, s[20:23], 0 offset:40 ; 4-byte Folded Reload
	v_mov_b32_e32 v1, v11
	v_lshlrev_b64 v[0:1], 3, v[0:1]
	v_mov_b32_e32 v11, s7
	v_add_co_u32_e64 v15, s[0:1], s6, v0
	v_cvt_f32_f64_e32 v7, v[7:8]
	v_cvt_f32_f64_e32 v8, v[3:4]
	v_addc_co_u32_e64 v16, s[0:1], v11, v1, s[0:1]
	s_mul_hi_u32 s6, s8, 0x180
	s_mul_i32 s7, s8, 0x180
	s_waitcnt vmcnt(0)
	v_mul_f32_e32 v3, v13, v6
	v_fmac_f32_e32 v3, v12, v5
	v_mul_f32_e32 v5, v13, v5
	v_fma_f32 v5, v12, v6, -v5
	v_cvt_f64_f32_e32 v[3:4], v3
	v_cvt_f64_f32_e32 v[5:6], v5
	v_mul_f64 v[0:1], v[3:4], s[2:3]
	v_lshlrev_b64 v[3:4], 3, v[9:10]
	v_mul_f64 v[9:10], v[5:6], s[2:3]
	v_add_co_u32_e64 v11, s[0:1], v15, v3
	v_addc_co_u32_e64 v12, s[0:1], v16, v4, s[0:1]
	global_store_dwordx2 v[11:12], v[7:8], off
	v_cvt_f32_f64_e32 v0, v[0:1]
	ds_read2_b64 v[3:6], v177 offset0:48 offset1:72
	v_cvt_f32_f64_e32 v1, v[9:10]
	buffer_load_dword v9, off, s[20:23], 0 offset:20 ; 4-byte Folded Reload
	buffer_load_dword v10, off, s[20:23], 0 offset:24 ; 4-byte Folded Reload
	s_mul_i32 s0, s9, 24
	s_mul_hi_u32 s1, s8, 24
	s_add_i32 s1, s1, s0
	s_mul_i32 s0, s8, 24
	s_lshl_b64 s[4:5], s[0:1], 3
	v_mov_b32_e32 v17, s5
	s_waitcnt vmcnt(0) lgkmcnt(0)
	v_mul_f32_e32 v7, v10, v4
	v_fmac_f32_e32 v7, v9, v3
	v_mul_f32_e32 v3, v10, v3
	v_fma_f32 v3, v9, v4, -v3
	v_add_co_u32_e64 v9, s[0:1], s4, v11
	v_addc_co_u32_e64 v10, s[0:1], v12, v17, s[0:1]
	global_store_dwordx2 v[9:10], v[0:1], off
	buffer_load_dword v11, off, s[20:23], 0 offset:4 ; 4-byte Folded Reload
	buffer_load_dword v12, off, s[20:23], 0 offset:8 ; 4-byte Folded Reload
	v_cvt_f64_f32_e32 v[7:8], v7
	v_cvt_f64_f32_e32 v[3:4], v3
	v_add_co_u32_e64 v9, s[0:1], s4, v9
	v_mul_f64 v[7:8], v[7:8], s[2:3]
	v_mul_f64 v[3:4], v[3:4], s[2:3]
	v_addc_co_u32_e64 v10, s[0:1], v10, v17, s[0:1]
	v_cvt_f32_f64_e32 v0, v[7:8]
	v_cvt_f32_f64_e32 v1, v[3:4]
	global_store_dwordx2 v[9:10], v[0:1], off
	v_add_co_u32_e64 v9, s[0:1], s4, v9
	v_addc_co_u32_e64 v10, s[0:1], v10, v17, s[0:1]
	s_waitcnt vmcnt(1)
	v_mul_f32_e32 v3, v12, v6
	v_fmac_f32_e32 v3, v11, v5
	v_cvt_f64_f32_e32 v[7:8], v3
	v_mul_f32_e32 v3, v12, v5
	v_fma_f32 v3, v11, v6, -v3
	v_cvt_f64_f32_e32 v[11:12], v3
	ds_read2_b64 v[3:6], v177 offset0:96 offset1:120
	buffer_load_dword v13, off, s[20:23], 0 offset:28 ; 4-byte Folded Reload
	buffer_load_dword v14, off, s[20:23], 0 offset:32 ; 4-byte Folded Reload
	v_mul_f64 v[0:1], v[7:8], s[2:3]
	v_mul_f64 v[7:8], v[11:12], s[2:3]
	v_cvt_f32_f64_e32 v0, v[0:1]
	v_cvt_f32_f64_e32 v1, v[7:8]
	global_store_dwordx2 v[9:10], v[0:1], off
	s_waitcnt vmcnt(1) lgkmcnt(0)
	v_mul_f32_e32 v11, v14, v4
	v_fmac_f32_e32 v11, v13, v3
	v_mul_f32_e32 v3, v14, v3
	v_fma_f32 v3, v13, v4, -v3
	buffer_load_dword v13, off, s[20:23], 0 offset:76 ; 4-byte Folded Reload
	v_cvt_f64_f32_e32 v[3:4], v3
	v_cvt_f64_f32_e32 v[11:12], v11
	v_mul_f64 v[3:4], v[3:4], s[2:3]
	v_mul_f64 v[7:8], v[11:12], s[2:3]
	v_cvt_f32_f64_e32 v1, v[3:4]
	v_cvt_f32_f64_e32 v0, v[7:8]
	s_waitcnt vmcnt(0)
	v_mad_u64_u32 v[11:12], s[0:1], s8, v13, 0
	v_mov_b32_e32 v3, v12
	v_mad_u64_u32 v[3:4], s[0:1], s9, v13, v[3:4]
	buffer_load_dword v12, off, s[20:23], 0 offset:12 ; 4-byte Folded Reload
	buffer_load_dword v13, off, s[20:23], 0 offset:16 ; 4-byte Folded Reload
	s_waitcnt vmcnt(0)
	v_mul_f32_e32 v4, v13, v6
	v_fmac_f32_e32 v4, v12, v5
	v_cvt_f64_f32_e32 v[7:8], v4
	v_mul_f32_e32 v4, v13, v5
	v_fma_f32 v4, v12, v6, -v4
	v_cvt_f64_f32_e32 v[4:5], v4
	v_mov_b32_e32 v12, v3
	v_lshlrev_b64 v[11:12], 3, v[11:12]
	v_mul_f64 v[7:8], v[7:8], s[2:3]
	v_add_co_u32_e64 v3, s[0:1], v15, v11
	v_mul_f64 v[13:14], v[4:5], s[2:3]
	v_addc_co_u32_e64 v4, s[0:1], v16, v12, s[0:1]
	global_store_dwordx2 v[3:4], v[0:1], off
	ds_read2_b64 v[3:6], v177 offset0:144 offset1:168
	buffer_load_dword v11, off, s[20:23], 0 offset:128 ; 4-byte Folded Reload
	buffer_load_dword v12, off, s[20:23], 0 offset:132 ; 4-byte Folded Reload
	v_cvt_f32_f64_e32 v0, v[7:8]
	s_mul_i32 s0, s9, 0x180
	v_cvt_f32_f64_e32 v1, v[13:14]
	s_add_i32 s6, s6, s0
	v_add_co_u32_e64 v9, s[0:1], s7, v9
	s_waitcnt vmcnt(0) lgkmcnt(0)
	v_mul_f32_e32 v7, v12, v4
	v_fmac_f32_e32 v7, v11, v3
	v_mul_f32_e32 v3, v12, v3
	v_fma_f32 v3, v11, v4, -v3
	v_mov_b32_e32 v11, s6
	v_addc_co_u32_e64 v10, s[0:1], v10, v11, s[0:1]
	global_store_dwordx2 v[9:10], v[0:1], off
	buffer_load_dword v11, off, s[20:23], 0 offset:112 ; 4-byte Folded Reload
	buffer_load_dword v12, off, s[20:23], 0 offset:116 ; 4-byte Folded Reload
	;; [unrolled: 1-line block ×3, first 2 shown]
	v_cvt_f64_f32_e32 v[3:4], v3
	v_cvt_f64_f32_e32 v[7:8], v7
	v_add_co_u32_e64 v9, s[0:1], s4, v9
	v_mul_f64 v[3:4], v[3:4], s[2:3]
	v_mul_f64 v[7:8], v[7:8], s[2:3]
	v_addc_co_u32_e64 v10, s[0:1], v10, v17, s[0:1]
	v_cvt_f32_f64_e32 v1, v[3:4]
	v_cvt_f32_f64_e32 v0, v[7:8]
	global_store_dwordx2 v[9:10], v[0:1], off
	s_waitcnt vmcnt(2)
	v_mul_f32_e32 v3, v12, v6
	v_fmac_f32_e32 v3, v11, v5
	v_cvt_f64_f32_e32 v[7:8], v3
	v_mul_f32_e32 v3, v12, v5
	v_fma_f32 v3, v11, v6, -v3
	v_cvt_f64_f32_e32 v[11:12], v3
	ds_read2_b64 v[3:6], v177 offset0:192 offset1:216
	v_mul_f64 v[0:1], v[7:8], s[2:3]
	v_mul_f64 v[7:8], v[11:12], s[2:3]
	s_waitcnt lgkmcnt(0)
	v_mul_f32_e32 v11, v255, v4
	v_fmac_f32_e32 v11, v254, v3
	v_mul_f32_e32 v3, v255, v3
	v_fma_f32 v3, v254, v4, -v3
	v_cvt_f64_f32_e32 v[3:4], v3
	v_cvt_f64_f32_e32 v[11:12], v11
	v_cvt_f32_f64_e32 v0, v[0:1]
	v_cvt_f32_f64_e32 v1, v[7:8]
	v_mul_f64 v[3:4], v[3:4], s[2:3]
	v_mul_f64 v[7:8], v[11:12], s[2:3]
	s_waitcnt vmcnt(1)
	v_mad_u64_u32 v[11:12], s[0:1], s8, v13, 0
	v_add_co_u32_e64 v9, s[0:1], s4, v9
	v_addc_co_u32_e64 v10, s[0:1], v10, v17, s[0:1]
	v_mad_u64_u32 v[12:13], s[0:1], s9, v13, v[12:13]
	global_store_dwordx2 v[9:10], v[0:1], off
	v_cvt_f32_f64_e32 v1, v[3:4]
	v_mul_f32_e32 v3, v144, v6
	v_fmac_f32_e32 v3, v143, v5
	v_cvt_f32_f64_e32 v0, v[7:8]
	v_lshlrev_b64 v[7:8], 3, v[11:12]
	v_cvt_f64_f32_e32 v[11:12], v3
	v_mul_f32_e32 v3, v144, v5
	v_fma_f32 v3, v143, v6, -v3
	v_cvt_f64_f32_e32 v[13:14], v3
	v_add_co_u32_e64 v7, s[0:1], v15, v7
	v_addc_co_u32_e64 v8, s[0:1], v16, v8, s[0:1]
	v_add_u32_e32 v3, 0x400, v177
	global_store_dwordx2 v[7:8], v[0:1], off
	ds_read2_b64 v[3:6], v3 offset0:112 offset1:136
	v_mul_f64 v[7:8], v[13:14], s[2:3]
	buffer_load_dword v13, off, s[20:23], 0 offset:104 ; 4-byte Folded Reload
	buffer_load_dword v14, off, s[20:23], 0 offset:108 ; 4-byte Folded Reload
	v_mul_f64 v[0:1], v[11:12], s[2:3]
	v_add_co_u32_e64 v9, s[0:1], s7, v9
	v_cvt_f32_f64_e32 v0, v[0:1]
	v_cvt_f32_f64_e32 v1, v[7:8]
	s_waitcnt vmcnt(0) lgkmcnt(0)
	v_mul_f32_e32 v11, v14, v4
	v_fmac_f32_e32 v11, v13, v3
	v_cvt_f64_f32_e32 v[11:12], v11
	v_mul_f32_e32 v3, v14, v3
	v_fma_f32 v3, v13, v4, -v3
	v_cvt_f64_f32_e32 v[3:4], v3
	v_mul_f64 v[7:8], v[11:12], s[2:3]
	v_mov_b32_e32 v11, s6
	v_addc_co_u32_e64 v10, s[0:1], v10, v11, s[0:1]
	global_store_dwordx2 v[9:10], v[0:1], off
	buffer_load_dword v11, off, s[20:23], 0 offset:88 ; 4-byte Folded Reload
	buffer_load_dword v12, off, s[20:23], 0 offset:92 ; 4-byte Folded Reload
	v_mul_f64 v[3:4], v[3:4], s[2:3]
	v_add_co_u32_e64 v9, s[0:1], s4, v9
	v_cvt_f32_f64_e32 v0, v[7:8]
	v_addc_co_u32_e64 v10, s[0:1], v10, v17, s[0:1]
	v_cvt_f32_f64_e32 v1, v[3:4]
	global_store_dwordx2 v[9:10], v[0:1], off
	s_waitcnt vmcnt(1)
	v_mul_f32_e32 v3, v12, v6
	v_fmac_f32_e32 v3, v11, v5
	v_cvt_f64_f32_e32 v[7:8], v3
	v_mul_f32_e32 v3, v12, v5
	v_fma_f32 v3, v11, v6, -v3
	v_cvt_f64_f32_e32 v[11:12], v3
	ds_read2_b64 v[3:6], v2 offset0:32 offset1:56
	buffer_load_dword v13, off, s[20:23], 0 offset:120 ; 4-byte Folded Reload
	buffer_load_dword v14, off, s[20:23], 0 offset:124 ; 4-byte Folded Reload
	v_mul_f64 v[0:1], v[7:8], s[2:3]
	v_mul_f64 v[7:8], v[11:12], s[2:3]
	v_cvt_f32_f64_e32 v0, v[0:1]
	v_cvt_f32_f64_e32 v1, v[7:8]
	s_waitcnt vmcnt(0) lgkmcnt(0)
	v_mul_f32_e32 v11, v14, v4
	v_fmac_f32_e32 v11, v13, v3
	v_mul_f32_e32 v3, v14, v3
	v_fma_f32 v3, v13, v4, -v3
	buffer_load_dword v13, off, s[20:23], 0 offset:68 ; 4-byte Folded Reload
	v_cvt_f64_f32_e32 v[11:12], v11
	v_cvt_f64_f32_e32 v[3:4], v3
	v_mul_f64 v[7:8], v[11:12], s[2:3]
	v_mul_f64 v[3:4], v[3:4], s[2:3]
	s_waitcnt vmcnt(0)
	v_mad_u64_u32 v[11:12], s[0:1], s8, v13, 0
	v_add_co_u32_e64 v9, s[0:1], s4, v9
	v_addc_co_u32_e64 v10, s[0:1], v10, v17, s[0:1]
	v_mad_u64_u32 v[12:13], s[0:1], s9, v13, v[12:13]
	global_store_dwordx2 v[9:10], v[0:1], off
	buffer_load_dword v13, off, s[20:23], 0 offset:96 ; 4-byte Folded Reload
	buffer_load_dword v14, off, s[20:23], 0 offset:100 ; 4-byte Folded Reload
	v_cvt_f32_f64_e32 v1, v[3:4]
	v_cvt_f32_f64_e32 v0, v[7:8]
	v_lshlrev_b64 v[7:8], 3, v[11:12]
	v_add_co_u32_e64 v7, s[0:1], v15, v7
	v_addc_co_u32_e64 v8, s[0:1], v16, v8, s[0:1]
	global_store_dwordx2 v[7:8], v[0:1], off
	v_add_co_u32_e64 v9, s[0:1], s7, v9
	s_waitcnt vmcnt(1)
	v_mul_f32_e32 v3, v14, v6
	v_fmac_f32_e32 v3, v13, v5
	v_cvt_f64_f32_e32 v[11:12], v3
	v_mul_f32_e32 v3, v14, v5
	v_fma_f32 v3, v13, v6, -v3
	v_cvt_f64_f32_e32 v[13:14], v3
	ds_read2_b64 v[3:6], v2 offset0:80 offset1:104
	v_mul_f64 v[0:1], v[11:12], s[2:3]
	v_mul_f64 v[7:8], v[13:14], s[2:3]
	buffer_load_dword v13, off, s[20:23], 0 offset:80 ; 4-byte Folded Reload
	buffer_load_dword v14, off, s[20:23], 0 offset:84 ; 4-byte Folded Reload
	v_cvt_f32_f64_e32 v0, v[0:1]
	v_cvt_f32_f64_e32 v1, v[7:8]
	s_waitcnt vmcnt(0) lgkmcnt(0)
	v_mul_f32_e32 v11, v14, v4
	v_fmac_f32_e32 v11, v13, v3
	v_cvt_f64_f32_e32 v[11:12], v11
	v_mul_f32_e32 v3, v14, v3
	v_fma_f32 v3, v13, v4, -v3
	v_cvt_f64_f32_e32 v[3:4], v3
	v_mul_f64 v[7:8], v[11:12], s[2:3]
	v_mov_b32_e32 v11, s6
	v_addc_co_u32_e64 v10, s[0:1], v10, v11, s[0:1]
	global_store_dwordx2 v[9:10], v[0:1], off
	v_mul_f64 v[3:4], v[3:4], s[2:3]
	v_add_co_u32_e64 v9, s[0:1], s4, v9
	v_cvt_f32_f64_e32 v0, v[7:8]
	buffer_load_dword v7, off, s[20:23], 0 offset:52 ; 4-byte Folded Reload
	buffer_load_dword v8, off, s[20:23], 0 offset:56 ; 4-byte Folded Reload
	;; [unrolled: 1-line block ×3, first 2 shown]
	v_addc_co_u32_e64 v10, s[0:1], v10, v17, s[0:1]
	v_cvt_f32_f64_e32 v1, v[3:4]
	global_store_dwordx2 v[9:10], v[0:1], off
	s_waitcnt vmcnt(2)
	v_mul_f32_e32 v3, v8, v6
	v_fmac_f32_e32 v3, v7, v5
	v_mul_f32_e32 v5, v8, v5
	v_fma_f32 v5, v7, v6, -v5
	v_cvt_f64_f32_e32 v[3:4], v3
	v_cvt_f64_f32_e32 v[5:6], v5
	ds_read_b64 v[7:8], v177 offset:3072
	v_mul_f64 v[0:1], v[3:4], s[2:3]
	v_mul_f64 v[3:4], v[5:6], s[2:3]
	s_waitcnt lgkmcnt(0)
	v_mul_f32_e32 v5, v122, v8
	v_fmac_f32_e32 v5, v121, v7
	v_mul_f32_e32 v7, v122, v7
	v_fma_f32 v7, v121, v8, -v7
	v_cvt_f64_f32_e32 v[5:6], v5
	v_cvt_f64_f32_e32 v[7:8], v7
	v_cvt_f32_f64_e32 v12, v[3:4]
	v_cvt_f32_f64_e32 v11, v[0:1]
	v_mul_f64 v[3:4], v[5:6], s[2:3]
	v_mul_f64 v[5:6], v[7:8], s[2:3]
	s_waitcnt vmcnt(1)
	v_mad_u64_u32 v[7:8], s[0:1], s8, v13, 0
	v_add_co_u32_e64 v0, s[0:1], s4, v9
	v_addc_co_u32_e64 v1, s[0:1], v10, v17, s[0:1]
	v_mad_u64_u32 v[8:9], s[0:1], s9, v13, v[8:9]
	v_cvt_f32_f64_e32 v3, v[3:4]
	v_cvt_f32_f64_e32 v4, v[5:6]
	v_lshlrev_b64 v[5:6], 3, v[7:8]
	global_store_dwordx2 v[0:1], v[11:12], off
	v_add_co_u32_e64 v5, s[0:1], v15, v5
	v_addc_co_u32_e64 v6, s[0:1], v16, v6, s[0:1]
	global_store_dwordx2 v[5:6], v[3:4], off
	s_and_b64 exec, exec, vcc
	s_cbranch_execz .LBB0_15
; %bb.14:
	global_load_dwordx2 v[7:8], v[112:113], off offset:136
	ds_read2_b64 v[3:6], v177 offset0:17 offset1:41
	s_waitcnt vmcnt(0) lgkmcnt(0)
	v_mul_f32_e32 v9, v4, v8
	v_mul_f32_e32 v8, v3, v8
	v_fmac_f32_e32 v9, v3, v7
	v_fma_f32 v7, v7, v4, -v8
	v_cvt_f64_f32_e32 v[3:4], v9
	v_cvt_f64_f32_e32 v[7:8], v7
	v_mov_b32_e32 v9, 0xfffff548
	v_mad_u64_u32 v[0:1], s[0:1], s8, v9, v[0:1]
	v_mul_f64 v[3:4], v[3:4], s[2:3]
	v_mul_f64 v[7:8], v[7:8], s[2:3]
	s_mul_i32 s0, s9, 0xfffff548
	s_sub_i32 s0, s0, s8
	v_add_u32_e32 v1, s0, v1
	v_mov_b32_e32 v9, s5
	v_cvt_f32_f64_e32 v3, v[3:4]
	v_cvt_f32_f64_e32 v4, v[7:8]
	global_store_dwordx2 v[0:1], v[3:4], off
	global_load_dwordx2 v[3:4], v[112:113], off offset:328
	v_add_co_u32_e32 v0, vcc, s4, v0
	v_addc_co_u32_e32 v1, vcc, v1, v9, vcc
	s_waitcnt vmcnt(0)
	v_mul_f32_e32 v7, v6, v4
	v_mul_f32_e32 v4, v5, v4
	v_fmac_f32_e32 v7, v5, v3
	v_fma_f32 v5, v3, v6, -v4
	v_cvt_f64_f32_e32 v[3:4], v7
	v_cvt_f64_f32_e32 v[5:6], v5
	v_mul_f64 v[3:4], v[3:4], s[2:3]
	v_mul_f64 v[5:6], v[5:6], s[2:3]
	v_cvt_f32_f64_e32 v3, v[3:4]
	v_cvt_f32_f64_e32 v4, v[5:6]
	global_store_dwordx2 v[0:1], v[3:4], off
	global_load_dwordx2 v[7:8], v[112:113], off offset:520
	ds_read2_b64 v[3:6], v177 offset0:65 offset1:89
	v_add_co_u32_e32 v0, vcc, s4, v0
	v_addc_co_u32_e32 v1, vcc, v1, v9, vcc
	s_waitcnt vmcnt(0) lgkmcnt(0)
	v_mul_f32_e32 v10, v4, v8
	v_mul_f32_e32 v8, v3, v8
	v_fmac_f32_e32 v10, v3, v7
	v_fma_f32 v7, v7, v4, -v8
	v_cvt_f64_f32_e32 v[3:4], v10
	v_cvt_f64_f32_e32 v[7:8], v7
	v_mul_f64 v[3:4], v[3:4], s[2:3]
	v_mul_f64 v[7:8], v[7:8], s[2:3]
	v_cvt_f32_f64_e32 v3, v[3:4]
	v_cvt_f32_f64_e32 v4, v[7:8]
	global_store_dwordx2 v[0:1], v[3:4], off
	global_load_dwordx2 v[3:4], v[112:113], off offset:712
	v_add_co_u32_e32 v0, vcc, s4, v0
	v_addc_co_u32_e32 v1, vcc, v1, v9, vcc
	s_waitcnt vmcnt(0)
	v_mul_f32_e32 v7, v6, v4
	v_mul_f32_e32 v4, v5, v4
	v_fmac_f32_e32 v7, v5, v3
	v_fma_f32 v5, v3, v6, -v4
	v_cvt_f64_f32_e32 v[3:4], v7
	v_cvt_f64_f32_e32 v[5:6], v5
	v_mul_f64 v[3:4], v[3:4], s[2:3]
	v_mul_f64 v[5:6], v[5:6], s[2:3]
	v_cvt_f32_f64_e32 v3, v[3:4]
	v_cvt_f32_f64_e32 v4, v[5:6]
	global_store_dwordx2 v[0:1], v[3:4], off
	global_load_dwordx2 v[7:8], v[112:113], off offset:904
	ds_read2_b64 v[3:6], v177 offset0:113 offset1:137
	v_add_co_u32_e32 v0, vcc, s4, v0
	v_addc_co_u32_e32 v1, vcc, v1, v9, vcc
	s_waitcnt vmcnt(0) lgkmcnt(0)
	v_mul_f32_e32 v10, v4, v8
	v_mul_f32_e32 v8, v3, v8
	v_fmac_f32_e32 v10, v3, v7
	v_fma_f32 v7, v7, v4, -v8
	v_cvt_f64_f32_e32 v[3:4], v10
	v_cvt_f64_f32_e32 v[7:8], v7
	v_mul_f64 v[3:4], v[3:4], s[2:3]
	v_mul_f64 v[7:8], v[7:8], s[2:3]
	;; [unrolled: 31-line block ×6, first 2 shown]
	v_cvt_f32_f64_e32 v3, v[3:4]
	v_cvt_f32_f64_e32 v4, v[7:8]
	global_store_dwordx2 v[0:1], v[3:4], off
	global_load_dwordx2 v[3:4], v[112:113], off offset:2632
	s_waitcnt vmcnt(0)
	v_mul_f32_e32 v7, v6, v4
	v_mul_f32_e32 v4, v5, v4
	v_fmac_f32_e32 v7, v5, v3
	v_fma_f32 v5, v3, v6, -v4
	v_cvt_f64_f32_e32 v[3:4], v7
	v_cvt_f64_f32_e32 v[5:6], v5
	v_mul_f64 v[3:4], v[3:4], s[2:3]
	v_mul_f64 v[5:6], v[5:6], s[2:3]
	v_cvt_f32_f64_e32 v3, v[3:4]
	v_cvt_f32_f64_e32 v4, v[5:6]
	v_add_co_u32_e32 v5, vcc, s4, v0
	v_addc_co_u32_e32 v6, vcc, v1, v9, vcc
	global_store_dwordx2 v[5:6], v[3:4], off
	global_load_dwordx2 v[7:8], v[112:113], off offset:2824
	ds_read2_b64 v[0:3], v2 offset0:97 offset1:121
	s_waitcnt vmcnt(0) lgkmcnt(0)
	v_mul_f32_e32 v4, v1, v8
	v_mul_f32_e32 v8, v0, v8
	v_fmac_f32_e32 v4, v0, v7
	v_fma_f32 v7, v7, v1, -v8
	v_cvt_f64_f32_e32 v[0:1], v4
	v_cvt_f64_f32_e32 v[7:8], v7
	v_add_co_u32_e32 v4, vcc, s4, v5
	v_mul_f64 v[0:1], v[0:1], s[2:3]
	v_mul_f64 v[7:8], v[7:8], s[2:3]
	v_addc_co_u32_e32 v5, vcc, v6, v9, vcc
	v_cvt_f32_f64_e32 v0, v[0:1]
	v_cvt_f32_f64_e32 v1, v[7:8]
	global_store_dwordx2 v[4:5], v[0:1], off
	global_load_dwordx2 v[0:1], v[112:113], off offset:3016
	s_waitcnt vmcnt(0)
	v_mul_f32_e32 v6, v3, v1
	v_mul_f32_e32 v1, v2, v1
	v_fmac_f32_e32 v6, v2, v0
	v_fma_f32 v2, v0, v3, -v1
	v_cvt_f64_f32_e32 v[0:1], v6
	v_cvt_f64_f32_e32 v[2:3], v2
	v_mul_f64 v[0:1], v[0:1], s[2:3]
	v_mul_f64 v[2:3], v[2:3], s[2:3]
	v_cvt_f32_f64_e32 v0, v[0:1]
	v_cvt_f32_f64_e32 v1, v[2:3]
	v_add_co_u32_e32 v2, vcc, s4, v4
	v_addc_co_u32_e32 v3, vcc, v5, v9, vcc
	global_store_dwordx2 v[2:3], v[0:1], off
	global_load_dwordx2 v[0:1], v[112:113], off offset:3208
	ds_read_b64 v[4:5], v177 offset:3208
	v_add_co_u32_e32 v2, vcc, s4, v2
	v_addc_co_u32_e32 v3, vcc, v3, v9, vcc
	s_waitcnt vmcnt(0) lgkmcnt(0)
	v_mul_f32_e32 v6, v5, v1
	v_mul_f32_e32 v1, v4, v1
	v_fmac_f32_e32 v6, v4, v0
	v_fma_f32 v4, v0, v5, -v1
	v_cvt_f64_f32_e32 v[0:1], v6
	v_cvt_f64_f32_e32 v[4:5], v4
	v_mul_f64 v[0:1], v[0:1], s[2:3]
	v_mul_f64 v[4:5], v[4:5], s[2:3]
	v_cvt_f32_f64_e32 v0, v[0:1]
	v_cvt_f32_f64_e32 v1, v[4:5]
	global_store_dwordx2 v[2:3], v[0:1], off
.LBB0_15:
	s_endpgm
	.section	.rodata,"a",@progbits
	.p2align	6, 0x0
	.amdhsa_kernel bluestein_single_fwd_len408_dim1_sp_op_CI_CI
		.amdhsa_group_segment_fixed_size 9792
		.amdhsa_private_segment_fixed_size 268
		.amdhsa_kernarg_size 104
		.amdhsa_user_sgpr_count 6
		.amdhsa_user_sgpr_private_segment_buffer 1
		.amdhsa_user_sgpr_dispatch_ptr 0
		.amdhsa_user_sgpr_queue_ptr 0
		.amdhsa_user_sgpr_kernarg_segment_ptr 1
		.amdhsa_user_sgpr_dispatch_id 0
		.amdhsa_user_sgpr_flat_scratch_init 0
		.amdhsa_user_sgpr_private_segment_size 0
		.amdhsa_uses_dynamic_stack 0
		.amdhsa_system_sgpr_private_segment_wavefront_offset 1
		.amdhsa_system_sgpr_workgroup_id_x 1
		.amdhsa_system_sgpr_workgroup_id_y 0
		.amdhsa_system_sgpr_workgroup_id_z 0
		.amdhsa_system_sgpr_workgroup_info 0
		.amdhsa_system_vgpr_workitem_id 0
		.amdhsa_next_free_vgpr 256
		.amdhsa_next_free_sgpr 24
		.amdhsa_reserve_vcc 1
		.amdhsa_reserve_flat_scratch 0
		.amdhsa_float_round_mode_32 0
		.amdhsa_float_round_mode_16_64 0
		.amdhsa_float_denorm_mode_32 3
		.amdhsa_float_denorm_mode_16_64 3
		.amdhsa_dx10_clamp 1
		.amdhsa_ieee_mode 1
		.amdhsa_fp16_overflow 0
		.amdhsa_exception_fp_ieee_invalid_op 0
		.amdhsa_exception_fp_denorm_src 0
		.amdhsa_exception_fp_ieee_div_zero 0
		.amdhsa_exception_fp_ieee_overflow 0
		.amdhsa_exception_fp_ieee_underflow 0
		.amdhsa_exception_fp_ieee_inexact 0
		.amdhsa_exception_int_div_zero 0
	.end_amdhsa_kernel
	.text
.Lfunc_end0:
	.size	bluestein_single_fwd_len408_dim1_sp_op_CI_CI, .Lfunc_end0-bluestein_single_fwd_len408_dim1_sp_op_CI_CI
                                        ; -- End function
	.section	.AMDGPU.csdata,"",@progbits
; Kernel info:
; codeLenInByte = 35176
; NumSgprs: 28
; NumVgprs: 256
; ScratchSize: 268
; MemoryBound: 0
; FloatMode: 240
; IeeeMode: 1
; LDSByteSize: 9792 bytes/workgroup (compile time only)
; SGPRBlocks: 3
; VGPRBlocks: 63
; NumSGPRsForWavesPerEU: 28
; NumVGPRsForWavesPerEU: 256
; Occupancy: 1
; WaveLimiterHint : 1
; COMPUTE_PGM_RSRC2:SCRATCH_EN: 1
; COMPUTE_PGM_RSRC2:USER_SGPR: 6
; COMPUTE_PGM_RSRC2:TRAP_HANDLER: 0
; COMPUTE_PGM_RSRC2:TGID_X_EN: 1
; COMPUTE_PGM_RSRC2:TGID_Y_EN: 0
; COMPUTE_PGM_RSRC2:TGID_Z_EN: 0
; COMPUTE_PGM_RSRC2:TIDIG_COMP_CNT: 0
	.type	__hip_cuid_d81433f89695a5f0,@object ; @__hip_cuid_d81433f89695a5f0
	.section	.bss,"aw",@nobits
	.globl	__hip_cuid_d81433f89695a5f0
__hip_cuid_d81433f89695a5f0:
	.byte	0                               ; 0x0
	.size	__hip_cuid_d81433f89695a5f0, 1

	.ident	"AMD clang version 19.0.0git (https://github.com/RadeonOpenCompute/llvm-project roc-6.4.0 25133 c7fe45cf4b819c5991fe208aaa96edf142730f1d)"
	.section	".note.GNU-stack","",@progbits
	.addrsig
	.addrsig_sym __hip_cuid_d81433f89695a5f0
	.amdgpu_metadata
---
amdhsa.kernels:
  - .args:
      - .actual_access:  read_only
        .address_space:  global
        .offset:         0
        .size:           8
        .value_kind:     global_buffer
      - .actual_access:  read_only
        .address_space:  global
        .offset:         8
        .size:           8
        .value_kind:     global_buffer
      - .actual_access:  read_only
        .address_space:  global
        .offset:         16
        .size:           8
        .value_kind:     global_buffer
      - .actual_access:  read_only
        .address_space:  global
        .offset:         24
        .size:           8
        .value_kind:     global_buffer
      - .actual_access:  read_only
        .address_space:  global
        .offset:         32
        .size:           8
        .value_kind:     global_buffer
      - .offset:         40
        .size:           8
        .value_kind:     by_value
      - .address_space:  global
        .offset:         48
        .size:           8
        .value_kind:     global_buffer
      - .address_space:  global
        .offset:         56
        .size:           8
        .value_kind:     global_buffer
      - .address_space:  global
        .offset:         64
        .size:           8
        .value_kind:     global_buffer
      - .address_space:  global
        .offset:         72
        .size:           8
        .value_kind:     global_buffer
      - .offset:         80
        .size:           4
        .value_kind:     by_value
      - .address_space:  global
        .offset:         88
        .size:           8
        .value_kind:     global_buffer
      - .address_space:  global
        .offset:         96
        .size:           8
        .value_kind:     global_buffer
    .group_segment_fixed_size: 9792
    .kernarg_segment_align: 8
    .kernarg_segment_size: 104
    .language:       OpenCL C
    .language_version:
      - 2
      - 0
    .max_flat_workgroup_size: 51
    .name:           bluestein_single_fwd_len408_dim1_sp_op_CI_CI
    .private_segment_fixed_size: 268
    .sgpr_count:     28
    .sgpr_spill_count: 0
    .symbol:         bluestein_single_fwd_len408_dim1_sp_op_CI_CI.kd
    .uniform_work_group_size: 1
    .uses_dynamic_stack: false
    .vgpr_count:     256
    .vgpr_spill_count: 66
    .wavefront_size: 64
amdhsa.target:   amdgcn-amd-amdhsa--gfx906
amdhsa.version:
  - 1
  - 2
...

	.end_amdgpu_metadata
